;; amdgpu-corpus repo=ROCm/rocFFT kind=compiled arch=gfx1030 opt=O3
	.text
	.amdgcn_target "amdgcn-amd-amdhsa--gfx1030"
	.amdhsa_code_object_version 6
	.protected	fft_rtc_fwd_len289_factors_17_17_wgs_119_tpt_17_dp_op_CI_CI_sbrc_xy_z_aligned ; -- Begin function fft_rtc_fwd_len289_factors_17_17_wgs_119_tpt_17_dp_op_CI_CI_sbrc_xy_z_aligned
	.globl	fft_rtc_fwd_len289_factors_17_17_wgs_119_tpt_17_dp_op_CI_CI_sbrc_xy_z_aligned
	.p2align	8
	.type	fft_rtc_fwd_len289_factors_17_17_wgs_119_tpt_17_dp_op_CI_CI_sbrc_xy_z_aligned,@function
fft_rtc_fwd_len289_factors_17_17_wgs_119_tpt_17_dp_op_CI_CI_sbrc_xy_z_aligned: ; @fft_rtc_fwd_len289_factors_17_17_wgs_119_tpt_17_dp_op_CI_CI_sbrc_xy_z_aligned
; %bb.0:
	s_clause 0x3
	s_load_dwordx4 s[16:19], s[4:5], 0x10
	s_load_dwordx2 s[34:35], s[4:5], 0x0
	s_load_dwordx2 s[24:25], s[4:5], 0x20
	s_load_dwordx4 s[8:11], s[4:5], 0x58
	s_waitcnt lgkmcnt(0)
	s_load_dwordx4 s[20:23], s[16:17], 0x8
	s_load_dwordx4 s[12:15], s[18:19], 0x0
	s_waitcnt lgkmcnt(0)
	s_add_i32 s0, s22, -1
	s_load_dwordx2 s[22:23], s[18:19], 0x10
	s_mul_hi_u32 s1, s0, 0x24924925
	s_sub_i32 s0, s0, s1
	s_lshr_b32 s0, s0, 1
	s_add_i32 s0, s0, s1
	s_lshr_b32 s0, s0, 2
	s_add_i32 s0, s0, 1
	s_mul_i32 s26, s0, s20
	v_cvt_f32_u32_e32 v1, s26
	s_sub_i32 s1, 0, s26
	v_rcp_iflag_f32_e32 v1, v1
	v_mul_f32_e32 v1, 0x4f7ffffe, v1
	v_cvt_u32_f32_e32 v1, v1
	v_readfirstlane_b32 s0, v1
	v_cvt_f32_u32_e32 v1, s20
	s_mul_i32 s1, s1, s0
	s_mul_hi_u32 s1, s0, s1
	s_add_i32 s0, s0, s1
	s_mul_hi_u32 s7, s6, s0
	s_mul_i32 s0, s7, s26
	s_waitcnt lgkmcnt(0)
	s_add_i32 s23, s7, 1
	s_sub_i32 s15, s6, s0
	s_clause 0x1
	s_load_dwordx4 s[0:3], s[24:25], 0x0
	s_load_dwordx2 s[16:17], s[24:25], 0x10
	s_sub_i32 s27, s15, s26
	s_cmp_ge_u32 s15, s26
	s_waitcnt lgkmcnt(0)
	s_cselect_b32 s3, s23, s7
	s_cselect_b32 s7, s27, s15
	s_add_i32 s15, s3, 1
	s_cmp_ge_u32 s7, s26
	s_mov_b32 s7, 0
	s_cselect_b32 s3, s15, s3
	s_mov_b32 s29, s7
	s_mul_i32 s15, s3, s26
	s_mov_b64 s[26:27], 0
	s_sub_i32 s28, s6, s15
	v_cmp_lt_u64_e64 s15, s[28:29], s[20:21]
	s_and_b32 vcc_lo, exec_lo, s15
	s_cbranch_vccnz .LBB0_2
; %bb.1:
	v_rcp_iflag_f32_e32 v2, v1
	s_sub_i32 s17, 0, s20
	v_mul_f32_e32 v2, 0x4f7ffffe, v2
	v_cvt_u32_f32_e32 v2, v2
	v_readfirstlane_b32 s15, v2
	s_mul_i32 s17, s17, s15
	s_mul_hi_u32 s17, s15, s17
	s_add_i32 s15, s15, s17
	s_mul_hi_u32 s15, s28, s15
	s_mul_i32 s17, s15, s20
	s_add_i32 s23, s15, 1
	s_sub_i32 s17, s28, s17
	s_sub_i32 s26, s17, s20
	s_cmp_ge_u32 s17, s20
	s_cselect_b32 s15, s23, s15
	s_cselect_b32 s17, s26, s17
	s_add_i32 s23, s15, 1
	s_cmp_ge_u32 s17, s20
	s_cselect_b32 s26, s23, s15
.LBB0_2:
	v_cmp_lt_u64_e64 s7, s[6:7], s[20:21]
	s_and_b32 vcc_lo, exec_lo, s7
	s_cbranch_vccnz .LBB0_4
; %bb.3:
	v_rcp_iflag_f32_e32 v1, v1
	s_sub_i32 s15, 0, s20
	v_mul_f32_e32 v1, 0x4f7ffffe, v1
	v_cvt_u32_f32_e32 v1, v1
	v_readfirstlane_b32 s7, v1
	s_mul_i32 s15, s15, s7
	s_mul_hi_u32 s15, s7, s15
	s_add_i32 s7, s7, s15
	s_mul_hi_u32 s7, s6, s7
	s_mul_i32 s7, s7, s20
	s_sub_i32 s6, s6, s7
	s_sub_i32 s7, s6, s20
	s_cmp_ge_u32 s6, s20
	s_cselect_b32 s6, s7, s6
	s_sub_i32 s7, s6, s20
	s_cmp_ge_u32 s6, s20
	s_cselect_b32 s6, s7, s6
.LBB0_4:
	s_load_dwordx2 s[20:21], s[4:5], 0x8
	s_mul_i32 s4, s26, 7
	s_mul_i32 s5, s6, s14
	;; [unrolled: 1-line block ×4, first 2 shown]
	s_mul_hi_u32 s23, s0, s4
	s_add_i32 s14, s5, s7
	s_add_i32 s5, s23, s17
	v_add_nc_u32_e32 v5, 0xee, v0
	v_add_nc_u32_e32 v11, 0x1dc, v0
	;; [unrolled: 1-line block ×4, first 2 shown]
	v_mad_u64_u32 v[1:2], null, s12, v0, 0
	v_mul_u32_u24_e32 v3, 0xe3, v5
	v_mul_u32_u24_e32 v7, 0xe3, v11
	v_mul_u32_u24_e32 v6, 0xe3, v10
	v_add_nc_u32_e32 v15, 0x253, v0
	s_mov_b32 s15, 0
	v_lshrrev_b32_e32 v12, 16, v3
	s_waitcnt lgkmcnt(0)
	s_lshl_b64 s[26:27], s[20:21], 3
	v_mad_u64_u32 v[3:4], null, s12, v8, 0
	s_add_u32 s18, s18, s26
	s_addc_u32 s19, s19, s27
	v_mul_lo_u16 v9, 0x121, v12
	s_load_dwordx2 s[20:21], s[18:19], 0x0
	v_lshrrev_b32_e32 v22, 16, v7
	v_lshrrev_b32_e32 v16, 16, v6
	v_mul_u32_u24_e32 v14, 0xe3, v15
	v_sub_nc_u16 v7, v5, v9
	v_mad_u64_u32 v[5:6], null, s13, v0, v[2:3]
	v_mul_lo_u16 v2, 0x121, v16
	v_mul_lo_u32 v76, s22, v12
	v_and_b32_e32 v13, 0xffff, v7
	v_mul_lo_u16 v12, 0x121, v22
	v_lshrrev_b32_e32 v48, 16, v14
	v_mov_b32_e32 v77, 0
	v_mad_u64_u32 v[8:9], null, s13, v8, v[4:5]
	v_mad_u64_u32 v[6:7], null, s12, v13, 0
	v_sub_nc_u16 v4, v10, v2
	v_mov_b32_e32 v2, v5
	v_mul_lo_u16 v20, 0x121, v48
	s_waitcnt lgkmcnt(0)
	s_mul_i32 s7, s21, s3
	s_mul_hi_u32 s17, s20, s3
	s_mul_i32 s20, s20, s3
	s_add_i32 s21, s17, s7
	s_add_u32 s18, s24, s26
	s_addc_u32 s19, s25, s27
	v_mov_b32_e32 v5, v7
	s_load_dwordx2 s[18:19], s[18:19], 0x0
	v_and_b32_e32 v17, 0xffff, v4
	v_mov_b32_e32 v4, v8
	s_lshl_b64 s[20:21], s[20:21], 4
	v_lshlrev_b64 v[1:2], 4, v[1:2]
	v_mad_u64_u32 v[7:8], null, s13, v13, v[5:6]
	v_mad_u64_u32 v[9:10], null, s12, v17, 0
	v_lshlrev_b64 v[3:4], 4, v[3:4]
	v_sub_nc_u16 v15, v15, v20
	v_add_nc_u32_e32 v20, 0x2ca, v0
	v_add_nc_u32_e32 v25, 0x42f, v0
	v_lshlrev_b64 v[5:6], 4, v[6:7]
	v_add_nc_u32_e32 v26, 0x4a6, v0
	v_and_b32_e32 v21, 0xffff, v15
	v_add_nc_u32_e32 v33, 0x51d, v0
	v_add_nc_u32_e32 v36, 0x594, v0
	;; [unrolled: 1-line block ×3, first 2 shown]
	s_mov_b32 s26, 0x5d8e7cdc
	s_waitcnt lgkmcnt(0)
	s_mul_i32 s7, s19, s3
	s_mul_hi_u32 s17, s18, s3
	v_mul_u32_u24_e32 v28, 0x717, v33
	s_add_i32 s7, s17, s7
	s_add_u32 s17, s8, s20
	s_addc_u32 s19, s9, s21
	s_lshl_b64 s[8:9], s[14:15], 4
	v_lshrrev_b32_e32 v58, 19, v28
	s_add_u32 s8, s17, s8
	s_addc_u32 s9, s19, s9
	v_add_co_u32 v1, vcc_lo, s8, v1
	v_add_co_ci_u32_e32 v2, vcc_lo, s9, v2, vcc_lo
	v_add_co_u32 v7, vcc_lo, s8, v3
	v_add_co_ci_u32_e32 v8, vcc_lo, s9, v4, vcc_lo
	v_mov_b32_e32 v3, v10
	v_sub_nc_u16 v4, v11, v12
	v_add_co_u32 v18, vcc_lo, s8, v5
	v_add_co_ci_u32_e32 v19, vcc_lo, s9, v6, vcc_lo
	v_mad_u64_u32 v[10:11], null, s13, v17, v[3:4]
	v_lshlrev_b64 v[11:12], 4, v[76:77]
	v_and_b32_e32 v17, 0xffff, v4
	v_mul_lo_u32 v76, s22, v16
	v_mad_u64_u32 v[15:16], null, s12, v21, 0
	v_mul_u32_u24_e32 v37, 0x717, v38
	v_add_co_u32 v11, vcc_lo, v18, v11
	v_mul_u32_u24_e32 v18, 0xe3, v20
	v_lshlrev_b64 v[9:10], 4, v[9:10]
	v_mad_u64_u32 v[13:14], null, s12, v17, 0
	v_add_co_ci_u32_e32 v12, vcc_lo, v19, v12, vcc_lo
	v_lshrrev_b32_e32 v53, 16, v18
	v_add_co_u32 v19, vcc_lo, s8, v9
	v_add_co_ci_u32_e32 v23, vcc_lo, s9, v10, vcc_lo
	v_mul_lo_u16 v24, 0x121, v53
	v_lshlrev_b64 v[9:10], 4, v[76:77]
	v_mad_u64_u32 v[17:18], null, s13, v17, v[14:15]
	v_mov_b32_e32 v14, v16
	v_sub_nc_u16 v16, v20, v24
	v_add_nc_u32_e32 v24, 0x341, v0
	v_add_co_u32 v18, vcc_lo, v19, v9
	v_add_co_ci_u32_e32 v19, vcc_lo, v23, v10, vcc_lo
	v_mad_u64_u32 v[9:10], null, s13, v21, v[14:15]
	v_add_nc_u32_e32 v23, 0x3b8, v0
	v_and_b32_e32 v10, 0xffff, v16
	v_mul_u32_u24_e32 v16, 0xe3, v24
	v_mov_b32_e32 v14, v17
	v_mul_lo_u32 v76, s22, v22
	v_mul_u32_u24_e32 v17, 0x717, v23
	v_mad_u64_u32 v[20:21], null, s12, v10, 0
	v_lshrrev_b32_e32 v54, 16, v16
	v_mov_b32_e32 v16, v9
	v_lshrrev_b32_e32 v55, 19, v17
	v_mul_u32_u24_e32 v17, 0x717, v25
	v_lshrrev_b32_e32 v63, 19, v37
	v_mul_lo_u16 v22, 0x121, v54
	v_mov_b32_e32 v9, v21
	v_lshlrev_b64 v[13:14], 4, v[13:14]
	v_lshrrev_b32_e32 v56, 19, v17
	v_mul_u32_u24_e32 v17, 0x717, v26
	v_sub_nc_u16 v21, v24, v22
	v_mul_lo_u16 v22, 0x121, v55
	v_mad_u64_u32 v[9:10], null, s13, v10, v[9:10]
	v_lshrrev_b32_e32 v57, 19, v17
	v_and_b32_e32 v21, 0xffff, v21
	v_sub_nc_u16 v10, v23, v22
	v_mul_lo_u16 v24, 0x121, v56
	v_mul_lo_u16 v41, 0x121, v63
	;; [unrolled: 1-line block ×3, first 2 shown]
	v_mad_u64_u32 v[22:23], null, s12, v21, 0
	v_and_b32_e32 v31, 0xffff, v10
	v_sub_nc_u16 v10, v25, v24
	v_sub_nc_u16 v17, v26, v17
	;; [unrolled: 1-line block ×3, first 2 shown]
	v_lshlrev_b64 v[15:16], 4, v[15:16]
	v_mad_u64_u32 v[24:25], null, s12, v31, 0
	v_and_b32_e32 v34, 0xffff, v10
	v_mov_b32_e32 v10, v23
	v_and_b32_e32 v23, 0xffff, v17
	s_clause 0x1
	global_load_dwordx4 v[1:4], v[1:2], off
	global_load_dwordx4 v[5:8], v[7:8], off
	s_mov_b32 s27, 0xbfd71e95
	v_mad_u64_u32 v[26:27], null, s12, v34, 0
	v_mad_u64_u32 v[28:29], null, s13, v21, v[10:11]
	v_mul_lo_u16 v21, 0x121, v58
	v_mad_u64_u32 v[29:30], null, s12, v23, 0
	v_mov_b32_e32 v10, v25
	v_mov_b32_e32 v17, v27
	v_sub_nc_u16 v21, v33, v21
	s_mov_b32 s48, 0x2a9d6da3
	s_mov_b32 s49, 0xbfe58eea
	v_mad_u64_u32 v[31:32], null, s13, v31, v[10:11]
	v_mov_b32_e32 v10, v30
	v_mad_u64_u32 v[32:33], null, s13, v34, v[17:18]
	v_and_b32_e32 v17, 0xffff, v21
	v_add_nc_u32_e32 v30, 0x60b, v0
	v_mul_u32_u24_e32 v21, 0x717, v36
	v_mad_u64_u32 v[33:34], null, s13, v23, v[10:11]
	v_mad_u64_u32 v[34:35], null, s12, v17, 0
	v_mul_u32_u24_e32 v10, 0x717, v30
	v_lshrrev_b32_e32 v59, 19, v21
	v_mov_b32_e32 v21, v9
	v_mov_b32_e32 v23, v28
	;; [unrolled: 1-line block ×3, first 2 shown]
	v_lshrrev_b32_e32 v60, 19, v10
	v_add_nc_u32_e32 v10, 0x682, v0
	v_mul_lo_u16 v28, 0x121, v59
	v_mov_b32_e32 v9, v35
	v_add_nc_u32_e32 v35, 0x6f9, v0
	v_mul_lo_u16 v31, 0x121, v60
	v_mov_b32_e32 v27, v32
	v_mul_u32_u24_e32 v32, 0x717, v10
	v_sub_nc_u16 v28, v36, v28
	v_mul_u32_u24_e32 v36, 0x717, v35
	v_sub_nc_u16 v30, v30, v31
	v_lshlrev_b64 v[20:21], 4, v[20:21]
	v_lshrrev_b32_e32 v61, 19, v32
	v_and_b32_e32 v28, 0xffff, v28
	v_lshrrev_b32_e32 v62, 19, v36
	v_and_b32_e32 v30, 0xffff, v30
	v_lshlrev_b64 v[22:23], 4, v[22:23]
	v_mul_lo_u16 v39, 0x121, v61
	v_mad_u64_u32 v[31:32], null, s12, v28, 0
	v_mul_lo_u16 v40, 0x121, v62
	v_mad_u64_u32 v[36:37], null, s12, v30, 0
	v_sub_nc_u16 v39, v10, v39
	v_mad_u64_u32 v[9:10], null, s13, v17, v[9:10]
	v_sub_nc_u16 v35, v35, v40
	v_mov_b32_e32 v10, v32
	v_and_b32_e32 v32, 0xffff, v39
	v_mov_b32_e32 v17, v37
	v_and_b32_e32 v37, 0xffff, v38
	v_and_b32_e32 v35, 0xffff, v35
	v_mad_u64_u32 v[44:45], null, s13, v28, v[10:11]
	v_mad_u64_u32 v[38:39], null, s12, v32, 0
	;; [unrolled: 1-line block ×5, first 2 shown]
	v_mov_b32_e32 v10, v39
	v_lshlrev_b64 v[46:47], 4, v[76:77]
	v_mul_lo_u32 v76, s22, v48
	v_mov_b32_e32 v17, v41
	v_mov_b32_e32 v28, v43
	v_mad_u64_u32 v[48:49], null, s13, v32, v[10:11]
	v_mov_b32_e32 v32, v44
	v_mad_u64_u32 v[49:50], null, s13, v35, v[17:18]
	v_mad_u64_u32 v[50:51], null, s13, v37, v[28:29]
	v_lshlrev_b64 v[51:52], 4, v[76:77]
	v_mul_lo_u32 v76, s22, v53
	v_add_co_u32 v17, vcc_lo, s8, v13
	v_add_co_ci_u32_e32 v28, vcc_lo, s9, v14, vcc_lo
	v_lshlrev_b64 v[13:14], 4, v[24:25]
	v_add_co_u32 v24, vcc_lo, v17, v46
	v_mov_b32_e32 v35, v9
	v_lshlrev_b64 v[9:10], 4, v[76:77]
	v_mul_lo_u32 v76, s22, v54
	v_add_co_ci_u32_e32 v25, vcc_lo, v28, v47, vcc_lo
	v_add_co_u32 v15, vcc_lo, s8, v15
	v_add_co_ci_u32_e32 v16, vcc_lo, s9, v16, vcc_lo
	v_mov_b32_e32 v39, v48
	v_add_co_u32 v48, vcc_lo, v15, v51
	v_mov_b32_e32 v37, v45
	v_mov_b32_e32 v41, v49
	v_lshlrev_b64 v[44:45], 4, v[76:77]
	v_mul_lo_u32 v76, s22, v55
	v_add_co_ci_u32_e32 v49, vcc_lo, v16, v52, vcc_lo
	v_add_co_u32 v15, vcc_lo, s8, v20
	v_mov_b32_e32 v30, v33
	v_add_co_ci_u32_e32 v16, vcc_lo, s9, v21, vcc_lo
	v_lshlrev_b64 v[26:27], 4, v[26:27]
	v_add_co_u32 v20, vcc_lo, s8, v22
	v_mov_b32_e32 v43, v50
	v_add_co_ci_u32_e32 v21, vcc_lo, s9, v23, vcc_lo
	v_lshlrev_b64 v[28:29], 4, v[29:30]
	v_add_co_u32 v22, vcc_lo, s8, v13
	v_lshlrev_b64 v[46:47], 4, v[76:77]
	v_mul_lo_u32 v76, s22, v56
	v_add_co_ci_u32_e32 v23, vcc_lo, s9, v14, vcc_lo
	v_lshlrev_b64 v[33:34], 4, v[34:35]
	v_lshlrev_b64 v[35:36], 4, v[36:37]
	v_lshlrev_b64 v[37:38], 4, v[38:39]
	v_lshlrev_b64 v[39:40], 4, v[40:41]
	v_lshlrev_b64 v[41:42], 4, v[42:43]
	v_add_co_u32 v43, vcc_lo, s8, v26
	v_add_co_ci_u32_e32 v52, vcc_lo, s9, v27, vcc_lo
	v_lshlrev_b64 v[30:31], 4, v[31:32]
	v_add_co_u32 v28, vcc_lo, s8, v28
	v_add_co_ci_u32_e32 v53, vcc_lo, s9, v29, vcc_lo
	v_lshlrev_b64 v[50:51], 4, v[76:77]
	v_mul_lo_u32 v76, s22, v57
	v_add_co_u32 v54, vcc_lo, s8, v33
	v_add_co_ci_u32_e32 v55, vcc_lo, s9, v34, vcc_lo
	v_add_co_u32 v56, vcc_lo, s8, v30
	v_add_co_ci_u32_e32 v57, vcc_lo, s9, v31, vcc_lo
	;; [unrolled: 2-line block ×3, first 2 shown]
	s_clause 0x1
	global_load_dwordx4 v[9:12], v[11:12], off
	global_load_dwordx4 v[13:16], v[18:19], off
	v_lshlrev_b64 v[17:18], 4, v[76:77]
	v_mul_lo_u32 v76, s22, v58
	v_add_co_u32 v64, vcc_lo, s8, v35
	v_add_co_ci_u32_e32 v65, vcc_lo, s9, v36, vcc_lo
	v_add_co_u32 v58, vcc_lo, s8, v37
	v_add_co_ci_u32_e32 v66, vcc_lo, s9, v38, vcc_lo
	v_lshlrev_b64 v[31:32], 4, v[76:77]
	v_mul_lo_u32 v76, s22, v59
	v_add_co_u32 v29, vcc_lo, v20, v44
	v_add_co_ci_u32_e32 v30, vcc_lo, v21, v45, vcc_lo
	v_add_co_u32 v59, vcc_lo, s8, v39
	v_add_co_ci_u32_e32 v67, vcc_lo, s9, v40, vcc_lo
	;; [unrolled: 6-line block ×4, first 2 shown]
	v_lshlrev_b64 v[43:44], 4, v[76:77]
	v_mul_lo_u32 v76, s22, v62
	v_add_co_u32 v45, vcc_lo, v54, v31
	v_add_co_ci_u32_e32 v46, vcc_lo, v55, v32, vcc_lo
	s_clause 0x1
	global_load_dwordx4 v[17:20], v[24:25], off
	global_load_dwordx4 v[21:24], v[48:49], off
	v_add_co_u32 v49, vcc_lo, v56, v33
	v_add_co_ci_u32_e32 v50, vcc_lo, v57, v34, vcc_lo
	v_lshlrev_b64 v[33:34], 4, v[76:77]
	v_mul_lo_u32 v76, s22, v63
	v_add_co_u32 v53, vcc_lo, v64, v39
	v_add_co_ci_u32_e32 v54, vcc_lo, v65, v40, vcc_lo
	v_add_co_u32 v57, vcc_lo, v58, v43
	v_add_co_ci_u32_e32 v58, vcc_lo, v66, v44, vcc_lo
	v_lshlrev_b64 v[51:52], 4, v[76:77]
	v_add_co_u32 v61, vcc_lo, v59, v33
	v_add_co_ci_u32_e32 v62, vcc_lo, v67, v34, vcc_lo
	s_clause 0x1
	global_load_dwordx4 v[25:28], v[26:27], off
	global_load_dwordx4 v[29:32], v[29:30], off
	v_add_co_u32 v65, vcc_lo, v68, v51
	v_add_co_ci_u32_e32 v66, vcc_lo, v69, v52, vcc_lo
	s_clause 0x8
	global_load_dwordx4 v[33:36], v[35:36], off
	global_load_dwordx4 v[37:40], v[37:38], off
	;; [unrolled: 1-line block ×9, first 2 shown]
	v_mul_u32_u24_e32 v69, 0xf10, v0
	s_mov_b32 s22, 0x370991
	s_mov_b32 s23, 0x3fedd6d0
	;; [unrolled: 1-line block ×4, first 2 shown]
	v_lshrrev_b32_e32 v69, 16, v69
	s_mov_b32 s9, 0x3fe7a5f6
	s_mov_b32 s51, 0xbfeca52d
	;; [unrolled: 1-line block ×4, first 2 shown]
	v_add_nc_u32_e32 v70, s4, v69
	v_mul_lo_u16 v69, v69, 17
	s_mov_b32 s21, 0x3fdc86fa
	s_mov_b32 s43, 0xbfefdd0d
	;; [unrolled: 1-line block ×3, first 2 shown]
	v_mul_hi_u32 v71, 0x24924925, v70
	v_sub_nc_u16 v69, v0, v69
	s_mov_b32 s24, 0x923c349f
	s_mov_b32 s13, 0x3fb79ee6
	s_mov_b32 s25, 0xbfeec746
	s_mov_b32 s30, 0x6c9a05f6
	v_and_b32_e32 v152, 0xffff, v69
	s_mov_b32 s46, 0x4363dd80
	v_sub_nc_u32_e32 v72, v70, v71
	s_mov_b32 s40, 0xacd6c6b4
	s_mov_b32 s28, 0xc61f0d01
	;; [unrolled: 1-line block ×4, first 2 shown]
	v_lshrrev_b32_e32 v72, 1, v72
	s_mov_b32 s41, 0xbfc7851a
	s_mov_b32 s29, 0xbfd183b1
	;; [unrolled: 1-line block ×4, first 2 shown]
	v_add_nc_u32_e32 v71, v72, v71
	s_mov_b32 s38, 0x7faef3
	s_mov_b32 s37, 0xbfe348c8
	;; [unrolled: 1-line block ×4, first 2 shown]
	v_lshrrev_b32_e32 v71, 2, v71
	s_mov_b32 s65, 0x3fe0d888
	s_mov_b32 s64, s46
	;; [unrolled: 1-line block ×4, first 2 shown]
	v_mul_lo_u32 v71, v71, 7
	s_mov_b32 s53, 0x3feca52d
	s_mov_b32 s52, s50
	;; [unrolled: 1-line block ×7, first 2 shown]
	v_sub_nc_u32_e32 v70, v70, v71
	v_lshl_add_u32 v71, v0, 4, 0
	s_mov_b32 s54, s48
	s_mov_b32 s61, 0x3fe9895b
	;; [unrolled: 1-line block ×3, first 2 shown]
	v_mul_u32_u24_e32 v70, 0x121, v70
	s_mov_b32 s63, 0x3fefdd0d
	s_mov_b32 s62, s42
	s_mul_i32 s4, s0, s4
	s_mul_i32 s14, s6, s16
	v_lshlrev_b32_e32 v69, 4, v70
	v_lshlrev_b32_e32 v70, 4, v152
	s_mul_i32 s6, s18, s3
	s_waitcnt vmcnt(16)
	ds_write_b128 v71, v[1:4]
	s_waitcnt vmcnt(15)
	ds_write_b128 v71, v[5:8] offset:1904
	s_waitcnt vmcnt(14)
	ds_write_b128 v71, v[9:12] offset:3808
	;; [unrolled: 2-line block ×16, first 2 shown]
	v_add_nc_u32_e32 v153, 0, v69
	v_add3_u32 v150, 0, v70, v69
	s_waitcnt lgkmcnt(0)
	s_barrier
	buffer_gl0_inv
	v_add_nc_u32_e32 v151, v153, v70
	ds_read_b128 v[1:4], v151
	ds_read_b128 v[5:8], v150 offset:272
	ds_read_b128 v[13:16], v150 offset:544
	;; [unrolled: 1-line block ×5, first 2 shown]
	s_waitcnt lgkmcnt(4)
	v_add_f64 v[17:18], v[1:2], v[5:6]
	v_add_f64 v[19:20], v[3:4], v[7:8]
	s_waitcnt lgkmcnt(0)
	v_add_f64 v[98:99], v[13:14], -v[154:155]
	v_add_f64 v[100:101], v[15:16], -v[156:157]
	v_add_f64 v[84:85], v[13:14], v[154:155]
	v_add_f64 v[78:79], v[15:16], v[156:157]
	;; [unrolled: 1-line block ×4, first 2 shown]
	ds_read_b128 v[17:20], v150 offset:4352
	ds_read_b128 v[41:44], v150 offset:1360
	;; [unrolled: 1-line block ×3, first 2 shown]
	v_mul_f64 v[88:89], v[100:101], s[48:49]
	v_mul_f64 v[86:87], v[98:99], s[48:49]
	v_add_f64 v[21:22], v[21:22], v[9:10]
	v_add_f64 v[23:24], v[23:24], v[11:12]
	s_waitcnt lgkmcnt(2)
	v_add_f64 v[45:46], v[7:8], -v[19:20]
	v_add_f64 v[90:91], v[5:6], -v[17:18]
	v_add_f64 v[96:97], v[5:6], v[17:18]
	v_add_f64 v[110:111], v[7:8], v[19:20]
	s_waitcnt lgkmcnt(0)
	v_add_f64 v[59:60], v[9:10], -v[158:159]
	v_add_f64 v[61:62], v[11:12], -v[160:161]
	ds_read_b128 v[5:8], v150 offset:1632
	ds_read_b128 v[73:76], v150 offset:1904
	;; [unrolled: 1-line block ×5, first 2 shown]
	v_add_f64 v[57:58], v[9:10], v[158:159]
	v_add_f64 v[55:56], v[11:12], v[160:161]
	v_fma_f64 v[82:83], v[84:85], s[8:9], -v[88:89]
	v_fma_f64 v[118:119], v[78:79], s[8:9], v[86:87]
	ds_read_b128 v[13:16], v150 offset:2720
	ds_read_b128 v[166:169], v150 offset:2992
	;; [unrolled: 1-line block ×3, first 2 shown]
	s_waitcnt lgkmcnt(0)
	s_barrier
	buffer_gl0_inv
	v_add_f64 v[21:22], v[21:22], v[37:38]
	v_add_f64 v[23:24], v[23:24], v[39:40]
	v_mul_f64 v[112:113], v[45:46], s[26:27]
	v_mul_f64 v[114:115], v[90:91], s[26:27]
	v_add_f64 v[63:64], v[37:38], -v[162:163]
	v_add_f64 v[69:70], v[39:40], -v[164:165]
	v_mul_f64 v[71:72], v[59:60], s[50:51]
	v_mul_f64 v[80:81], v[61:62], s[50:51]
	v_add_f64 v[51:52], v[37:38], v[162:163]
	v_add_f64 v[49:50], v[39:40], v[164:165]
	v_add_f64 v[29:30], v[102:103], -v[106:107]
	v_add_f64 v[37:38], v[5:6], v[166:167]
	v_add_f64 v[67:68], v[43:44], -v[172:173]
	v_add_f64 v[65:66], v[41:42], -v[170:171]
	v_add_f64 v[39:40], v[7:8], v[168:169]
	v_add_f64 v[47:48], v[5:6], -v[166:167]
	v_add_f64 v[53:54], v[7:8], -v[168:169]
	;; [unrolled: 1-line block ×3, first 2 shown]
	v_mul_f64 v[124:125], v[45:46], s[42:43]
	v_mul_f64 v[126:127], v[45:46], s[24:25]
	;; [unrolled: 1-line block ×4, first 2 shown]
	v_add_f64 v[25:26], v[21:22], v[41:42]
	v_add_f64 v[27:28], v[23:24], v[43:44]
	v_fma_f64 v[33:34], v[96:97], s[22:23], -v[112:113]
	v_fma_f64 v[35:36], v[110:111], s[22:23], v[114:115]
	v_mul_f64 v[92:93], v[63:64], s[42:43]
	v_mul_f64 v[94:95], v[69:70], s[42:43]
	v_fma_f64 v[122:123], v[55:56], s[20:21], v[71:72]
	v_add_f64 v[41:42], v[41:42], v[170:171]
	v_add_f64 v[43:44], v[43:44], v[172:173]
	;; [unrolled: 1-line block ×4, first 2 shown]
	v_mul_f64 v[132:133], v[45:46], s[40:41]
	v_mul_f64 v[134:135], v[90:91], s[48:49]
	;; [unrolled: 1-line block ×6, first 2 shown]
	v_fma_f64 v[112:113], v[96:97], s[22:23], v[112:113]
	v_fma_f64 v[176:177], v[96:97], s[12:13], -v[124:125]
	v_fma_f64 v[124:125], v[96:97], s[12:13], v[124:125]
	v_fma_f64 v[178:179], v[96:97], s[28:29], -v[126:127]
	v_fma_f64 v[126:127], v[96:97], s[28:29], v[126:127]
	v_add_f64 v[9:10], v[25:26], v[5:6]
	v_add_f64 v[11:12], v[27:28], v[7:8]
	;; [unrolled: 1-line block ×5, first 2 shown]
	v_add_f64 v[35:36], v[75:76], -v[15:16]
	v_fma_f64 v[144:145], v[51:52], s[12:13], -v[94:95]
	v_add_f64 v[25:26], v[73:74], v[13:14]
	v_add_f64 v[33:34], v[73:74], -v[13:14]
	v_fma_f64 v[180:181], v[96:97], s[36:37], -v[128:129]
	v_fma_f64 v[128:129], v[96:97], s[36:37], v[128:129]
	v_fma_f64 v[182:183], v[96:97], s[44:45], -v[130:131]
	v_fma_f64 v[130:131], v[96:97], s[44:45], v[130:131]
	;; [unrolled: 2-line block ×3, first 2 shown]
	v_fma_f64 v[132:133], v[110:111], s[20:21], -v[136:137]
	v_fma_f64 v[188:189], v[110:111], s[28:29], -v[140:141]
	v_add_f64 v[176:177], v[1:2], v[176:177]
	v_add_f64 v[210:211], v[1:2], v[124:125]
	;; [unrolled: 1-line block ×4, first 2 shown]
	v_fma_f64 v[11:12], v[57:58], s[20:21], -v[80:81]
	v_add_f64 v[116:117], v[82:83], v[116:117]
	v_add_f64 v[118:119], v[118:119], v[120:121]
	v_mul_f64 v[75:76], v[67:68], s[24:25]
	v_mul_f64 v[82:83], v[65:66], s[24:25]
	v_mul_f64 v[9:10], v[45:46], s[48:49]
	v_mul_f64 v[120:121], v[45:46], s[50:51]
	v_mul_f64 v[73:74], v[53:54], s[30:31]
	v_mul_f64 v[45:46], v[35:36], s[46:47]
	v_add_f64 v[128:129], v[1:2], v[128:129]
	v_add_f64 v[124:125], v[1:2], v[182:183]
	;; [unrolled: 1-line block ×5, first 2 shown]
	v_mul_f64 v[102:103], v[90:91], s[30:31]
	v_add_f64 v[11:12], v[11:12], v[116:117]
	v_fma_f64 v[116:117], v[49:50], s[12:13], v[92:93]
	v_add_f64 v[118:119], v[122:123], v[118:119]
	v_mul_f64 v[104:105], v[90:91], s[46:47]
	v_mul_f64 v[90:91], v[47:48], s[30:31]
	v_fma_f64 v[122:123], v[41:42], s[28:29], -v[75:76]
	v_fma_f64 v[146:147], v[43:44], s[28:29], v[82:83]
	v_fma_f64 v[148:149], v[96:97], s[8:9], -v[9:10]
	v_fma_f64 v[9:10], v[96:97], s[8:9], v[9:10]
	;; [unrolled: 2-line block ×3, first 2 shown]
	v_mul_f64 v[96:97], v[33:34], s[46:47]
	v_fma_f64 v[192:193], v[37:38], s[36:37], -v[73:74]
	v_add_f64 v[5:6], v[5:6], v[106:107]
	v_add_f64 v[7:8], v[7:8], v[108:109]
	v_fma_f64 v[108:109], v[110:111], s[22:23], -v[114:115]
	v_add_f64 v[11:12], v[144:145], v[11:12]
	v_fma_f64 v[114:115], v[110:111], s[8:9], v[134:135]
	v_add_f64 v[106:107], v[116:117], v[118:119]
	v_fma_f64 v[116:117], v[110:111], s[8:9], -v[134:135]
	v_fma_f64 v[118:119], v[110:111], s[20:21], v[136:137]
	v_fma_f64 v[134:135], v[110:111], s[12:13], v[138:139]
	v_fma_f64 v[136:137], v[110:111], s[12:13], -v[138:139]
	v_fma_f64 v[138:139], v[110:111], s[28:29], v[140:141]
	v_fma_f64 v[190:191], v[110:111], s[36:37], v[102:103]
	v_fma_f64 v[102:103], v[110:111], s[36:37], -v[102:103]
	v_fma_f64 v[196:197], v[39:40], s[36:37], v[90:91]
	v_add_f64 v[148:149], v[1:2], v[148:149]
	v_add_f64 v[9:10], v[1:2], v[9:10]
	;; [unrolled: 1-line block ×7, first 2 shown]
	v_mul_f64 v[130:131], v[98:99], s[42:43]
	v_add_f64 v[5:6], v[5:6], v[13:14]
	v_add_f64 v[7:8], v[7:8], v[15:16]
	v_fma_f64 v[13:14], v[110:111], s[44:45], v[104:105]
	v_fma_f64 v[15:16], v[110:111], s[44:45], -v[104:105]
	v_fma_f64 v[104:105], v[110:111], s[38:39], v[142:143]
	v_fma_f64 v[110:111], v[110:111], s[38:39], -v[142:143]
	v_add_f64 v[11:12], v[122:123], v[11:12]
	v_add_f64 v[194:195], v[146:147], v[106:107]
	v_add_f64 v[106:107], v[1:2], v[112:113]
	v_add_f64 v[108:109], v[3:4], v[108:109]
	v_add_f64 v[198:199], v[3:4], v[114:115]
	v_add_f64 v[200:201], v[3:4], v[116:117]
	v_add_f64 v[202:203], v[3:4], v[118:119]
	v_add_f64 v[208:209], v[3:4], v[134:135]
	v_add_f64 v[212:213], v[3:4], v[136:137]
	v_add_f64 v[146:147], v[3:4], v[138:139]
	v_add_f64 v[142:143], v[3:4], v[188:189]
	v_add_f64 v[136:137], v[1:2], v[180:181]
	v_add_f64 v[132:133], v[3:4], v[190:191]
	v_add_f64 v[126:127], v[3:4], v[102:103]
	v_add_f64 v[116:117], v[1:2], v[184:185]
	v_add_f64 v[112:113], v[1:2], v[186:187]
	v_mul_f64 v[102:103], v[31:32], s[40:41]
	v_fma_f64 v[1:2], v[25:26], s[44:45], -v[45:46]
	v_add_f64 v[122:123], v[3:4], v[13:14]
	v_add_f64 v[118:119], v[3:4], v[15:16]
	;; [unrolled: 1-line block ×5, first 2 shown]
	v_fma_f64 v[11:12], v[27:28], s[44:45], v[96:97]
	v_add_f64 v[13:14], v[196:197], v[194:195]
	v_mul_f64 v[104:105], v[29:30], s[40:41]
	v_add_f64 v[5:6], v[5:6], v[166:167]
	v_mul_f64 v[15:16], v[100:101], s[42:43]
	;; [unrolled: 2-line block ×3, first 2 shown]
	v_mul_f64 v[168:169], v[67:68], s[64:65]
	v_mul_f64 v[178:179], v[31:32], s[56:57]
	;; [unrolled: 1-line block ×5, first 2 shown]
	v_add_f64 v[1:2], v[1:2], v[3:4]
	v_fma_f64 v[3:4], v[21:22], s[38:39], -v[102:103]
	v_add_f64 v[11:12], v[11:12], v[13:14]
	v_fma_f64 v[13:14], v[23:24], s[38:39], v[104:105]
	v_add_f64 v[5:6], v[5:6], v[170:171]
	v_fma_f64 v[134:135], v[84:85], s[12:13], -v[15:16]
	v_add_f64 v[7:8], v[7:8], v[172:173]
	v_mul_f64 v[170:171], v[65:66], s[64:65]
	v_fma_f64 v[15:16], v[84:85], s[12:13], v[15:16]
	v_add_f64 v[1:2], v[3:4], v[1:2]
	v_add_f64 v[3:4], v[13:14], v[11:12]
	v_mul_f64 v[11:12], v[59:60], s[30:31]
	v_fma_f64 v[13:14], v[78:79], s[12:13], v[130:131]
	v_add_f64 v[134:135], v[134:135], v[148:149]
	v_fma_f64 v[148:149], v[57:58], s[36:37], -v[138:139]
	v_add_f64 v[5:6], v[5:6], v[162:163]
	v_mul_f64 v[162:163], v[69:70], s[40:41]
	v_add_f64 v[7:8], v[7:8], v[164:165]
	v_mul_f64 v[164:165], v[63:64], s[40:41]
	v_add_f64 v[9:10], v[15:16], v[9:10]
	v_fma_f64 v[15:16], v[78:79], s[12:13], -v[130:131]
	v_mul_f64 v[130:131], v[100:101], s[30:31]
	v_fma_f64 v[138:139], v[57:58], s[36:37], v[138:139]
	v_fma_f64 v[166:167], v[55:56], s[36:37], v[11:12]
	v_add_f64 v[13:14], v[13:14], v[198:199]
	v_fma_f64 v[11:12], v[55:56], s[36:37], -v[11:12]
	v_add_f64 v[134:135], v[148:149], v[134:135]
	v_add_f64 v[158:159], v[5:6], v[158:159]
	v_fma_f64 v[148:149], v[51:52], s[38:39], -v[162:163]
	v_add_f64 v[160:161], v[7:8], v[160:161]
	v_fma_f64 v[7:8], v[49:50], s[38:39], v[164:165]
	v_fma_f64 v[162:163], v[51:52], s[38:39], v[162:163]
	v_add_f64 v[15:16], v[15:16], v[200:201]
	v_fma_f64 v[164:165], v[49:50], s[38:39], -v[164:165]
	v_add_f64 v[9:10], v[138:139], v[9:10]
	v_mul_f64 v[138:139], v[61:62], s[66:67]
	v_add_f64 v[5:6], v[166:167], v[13:14]
	v_add_f64 v[154:155], v[158:159], v[154:155]
	;; [unrolled: 1-line block ×3, first 2 shown]
	v_fma_f64 v[134:135], v[41:42], s[44:45], -v[168:169]
	v_fma_f64 v[158:159], v[84:85], s[36:37], -v[130:131]
	v_add_f64 v[156:157], v[160:161], v[156:157]
	v_mul_f64 v[160:161], v[98:99], s[30:31]
	v_add_f64 v[11:12], v[11:12], v[15:16]
	v_fma_f64 v[130:131], v[84:85], s[36:37], v[130:131]
	v_fma_f64 v[15:16], v[57:58], s[38:39], -v[138:139]
	v_fma_f64 v[138:139], v[57:58], s[38:39], v[138:139]
	v_add_f64 v[9:10], v[162:163], v[9:10]
	v_fma_f64 v[168:169], v[41:42], s[44:45], v[168:169]
	v_add_f64 v[5:6], v[7:8], v[5:6]
	v_fma_f64 v[7:8], v[43:44], s[44:45], v[170:171]
	v_fma_f64 v[170:171], v[43:44], s[44:45], -v[170:171]
	v_add_f64 v[13:14], v[134:135], v[13:14]
	v_mul_f64 v[134:135], v[53:54], s[58:59]
	v_add_f64 v[158:159], v[158:159], v[174:175]
	v_add_f64 v[11:12], v[164:165], v[11:12]
	;; [unrolled: 1-line block ×5, first 2 shown]
	v_fma_f64 v[7:8], v[37:38], s[28:29], -v[134:135]
	v_add_f64 v[15:16], v[15:16], v[158:159]
	v_mul_f64 v[158:159], v[59:60], s[66:67]
	v_add_f64 v[11:12], v[170:171], v[11:12]
	v_add_f64 v[130:131], v[138:139], v[130:131]
	v_mul_f64 v[138:139], v[69:70], s[58:59]
	v_mul_f64 v[170:171], v[53:54], s[26:27]
	v_fma_f64 v[134:135], v[37:38], s[28:29], v[134:135]
	v_add_f64 v[7:8], v[7:8], v[13:14]
	v_mul_f64 v[13:14], v[47:48], s[58:59]
	v_fma_f64 v[174:175], v[55:56], s[38:39], v[158:159]
	v_fma_f64 v[158:159], v[55:56], s[38:39], -v[158:159]
	v_fma_f64 v[162:163], v[51:52], s[28:29], -v[138:139]
	v_fma_f64 v[138:139], v[51:52], s[28:29], v[138:139]
	v_add_f64 v[9:10], v[134:135], v[9:10]
	v_fma_f64 v[148:149], v[39:40], s[28:29], v[13:14]
	v_fma_f64 v[13:14], v[39:40], s[28:29], -v[13:14]
	v_add_f64 v[15:16], v[162:163], v[15:16]
	v_mul_f64 v[162:163], v[67:68], s[54:55]
	v_add_f64 v[138:139], v[138:139], v[130:131]
	v_add_f64 v[5:6], v[148:149], v[5:6]
	v_mul_f64 v[148:149], v[35:36], s[52:53]
	v_add_f64 v[11:12], v[13:14], v[11:12]
	v_fma_f64 v[130:131], v[41:42], s[8:9], -v[162:163]
	v_fma_f64 v[162:163], v[41:42], s[8:9], v[162:163]
	v_fma_f64 v[166:167], v[25:26], s[20:21], -v[148:149]
	v_fma_f64 v[134:135], v[25:26], s[20:21], v[148:149]
	v_mul_f64 v[148:149], v[33:34], s[42:43]
	v_add_f64 v[15:16], v[130:131], v[15:16]
	v_add_f64 v[138:139], v[162:163], v[138:139]
	;; [unrolled: 1-line block ×3, first 2 shown]
	v_mul_f64 v[166:167], v[33:34], s[52:53]
	v_add_f64 v[9:10], v[134:135], v[9:10]
	v_mul_f64 v[134:135], v[31:32], s[46:47]
	v_fma_f64 v[172:173], v[27:28], s[20:21], v[166:167]
	v_add_f64 v[172:173], v[172:173], v[5:6]
	v_fma_f64 v[5:6], v[21:22], s[22:23], -v[178:179]
	v_add_f64 v[5:6], v[5:6], v[7:8]
	v_fma_f64 v[7:8], v[23:24], s[22:23], v[180:181]
	v_add_f64 v[7:8], v[7:8], v[172:173]
	v_fma_f64 v[172:173], v[78:79], s[36:37], v[160:161]
	v_fma_f64 v[160:161], v[78:79], s[36:37], -v[160:161]
	v_add_f64 v[172:173], v[172:173], v[202:203]
	v_add_f64 v[160:161], v[160:161], v[206:207]
	;; [unrolled: 1-line block ×4, first 2 shown]
	v_mul_f64 v[160:161], v[63:64], s[58:59]
	v_mul_f64 v[174:175], v[47:48], s[26:27]
	v_fma_f64 v[164:165], v[49:50], s[28:29], v[160:161]
	v_fma_f64 v[13:14], v[39:40], s[22:23], v[174:175]
	v_fma_f64 v[160:161], v[49:50], s[28:29], -v[160:161]
	v_fma_f64 v[174:175], v[39:40], s[22:23], -v[174:175]
	v_add_f64 v[164:165], v[164:165], v[172:173]
	v_mul_f64 v[172:173], v[65:66], s[54:55]
	v_fma_f64 v[168:169], v[43:44], s[8:9], v[172:173]
	v_fma_f64 v[172:173], v[43:44], s[8:9], -v[172:173]
	v_add_f64 v[130:131], v[168:169], v[164:165]
	v_fma_f64 v[164:165], v[37:38], s[22:23], -v[170:171]
	v_mul_f64 v[168:169], v[35:36], s[42:43]
	v_fma_f64 v[170:171], v[37:38], s[22:23], v[170:171]
	v_add_f64 v[13:14], v[13:14], v[130:131]
	v_add_f64 v[15:16], v[164:165], v[15:16]
	v_fma_f64 v[164:165], v[27:28], s[20:21], -v[166:167]
	v_fma_f64 v[130:131], v[25:26], s[12:13], -v[168:169]
	v_fma_f64 v[166:167], v[27:28], s[12:13], v[148:149]
	v_add_f64 v[138:139], v[170:171], v[138:139]
	v_mul_f64 v[170:171], v[53:54], s[46:47]
	v_fma_f64 v[168:169], v[25:26], s[12:13], v[168:169]
	v_add_f64 v[11:12], v[164:165], v[11:12]
	v_add_f64 v[164:165], v[130:131], v[15:16]
	v_mul_f64 v[130:131], v[29:30], s[46:47]
	v_add_f64 v[166:167], v[166:167], v[13:14]
	v_add_f64 v[13:14], v[154:155], v[17:18]
	;; [unrolled: 1-line block ×3, first 2 shown]
	v_fma_f64 v[17:18], v[21:22], s[22:23], v[178:179]
	v_fma_f64 v[19:20], v[23:24], s[22:23], -v[180:181]
	v_add_f64 v[154:155], v[160:161], v[158:159]
	v_fma_f64 v[156:157], v[21:22], s[44:45], -v[134:135]
	v_mul_f64 v[160:161], v[100:101], s[40:41]
	v_mul_f64 v[178:179], v[98:99], s[40:41]
	;; [unrolled: 1-line block ×3, first 2 shown]
	v_fma_f64 v[134:135], v[21:22], s[44:45], v[134:135]
	v_fma_f64 v[158:159], v[23:24], s[44:45], v[130:131]
	v_fma_f64 v[130:131], v[23:24], s[44:45], -v[130:131]
	v_add_f64 v[9:10], v[17:18], v[9:10]
	v_add_f64 v[11:12], v[19:20], v[11:12]
	;; [unrolled: 1-line block ×4, first 2 shown]
	v_fma_f64 v[156:157], v[84:85], s[38:39], -v[160:161]
	v_mul_f64 v[164:165], v[61:62], s[58:59]
	v_fma_f64 v[160:161], v[84:85], s[38:39], v[160:161]
	v_mul_f64 v[172:173], v[63:64], s[56:57]
	v_add_f64 v[19:20], v[158:159], v[166:167]
	v_fma_f64 v[158:159], v[78:79], s[38:39], v[178:179]
	v_mul_f64 v[166:167], v[59:60], s[58:59]
	v_fma_f64 v[178:179], v[78:79], s[38:39], -v[178:179]
	v_add_f64 v[154:155], v[174:175], v[154:155]
	v_fma_f64 v[174:175], v[43:44], s[20:21], v[184:185]
	v_add_f64 v[156:157], v[156:157], v[176:177]
	v_fma_f64 v[162:163], v[57:58], s[28:29], -v[164:165]
	v_add_f64 v[160:161], v[160:161], v[210:211]
	v_fma_f64 v[182:183], v[49:50], s[22:23], v[172:173]
	v_fma_f64 v[164:165], v[57:58], s[28:29], v[164:165]
	v_fma_f64 v[172:173], v[49:50], s[22:23], -v[172:173]
	v_add_f64 v[158:159], v[158:159], v[208:209]
	v_fma_f64 v[176:177], v[55:56], s[28:29], v[166:167]
	v_add_f64 v[178:179], v[178:179], v[212:213]
	v_fma_f64 v[166:167], v[55:56], s[28:29], -v[166:167]
	v_add_f64 v[156:157], v[162:163], v[156:157]
	v_fma_f64 v[162:163], v[51:52], s[22:23], -v[180:181]
	v_add_f64 v[160:161], v[164:165], v[160:161]
	v_add_f64 v[158:159], v[176:177], v[158:159]
	v_mul_f64 v[176:177], v[67:68], s[50:51]
	v_add_f64 v[164:165], v[166:167], v[178:179]
	v_fma_f64 v[166:167], v[51:52], s[22:23], v[180:181]
	v_mul_f64 v[178:179], v[47:48], s[46:47]
	v_fma_f64 v[180:181], v[27:28], s[12:13], -v[148:149]
	v_add_f64 v[148:149], v[168:169], v[138:139]
	v_mul_f64 v[168:169], v[33:34], s[60:61]
	v_add_f64 v[156:157], v[162:163], v[156:157]
	v_add_f64 v[158:159], v[182:183], v[158:159]
	v_fma_f64 v[162:163], v[41:42], s[20:21], -v[176:177]
	v_mul_f64 v[182:183], v[35:36], s[60:61]
	v_add_f64 v[160:161], v[166:167], v[160:161]
	v_fma_f64 v[166:167], v[39:40], s[44:45], v[178:179]
	v_add_f64 v[164:165], v[172:173], v[164:165]
	v_fma_f64 v[172:173], v[41:42], s[20:21], v[176:177]
	v_add_f64 v[138:139], v[180:181], v[154:155]
	v_mul_f64 v[176:177], v[98:99], s[64:65]
	v_mul_f64 v[180:181], v[61:62], s[54:55]
	v_fma_f64 v[178:179], v[39:40], s[44:45], -v[178:179]
	v_add_f64 v[158:159], v[174:175], v[158:159]
	v_add_f64 v[156:157], v[162:163], v[156:157]
	v_fma_f64 v[162:163], v[37:38], s[44:45], -v[170:171]
	v_fma_f64 v[174:175], v[43:44], s[20:21], -v[184:185]
	v_mul_f64 v[184:185], v[69:70], s[50:51]
	v_fma_f64 v[170:171], v[37:38], s[44:45], v[170:171]
	v_add_f64 v[160:161], v[172:173], v[160:161]
	v_fma_f64 v[172:173], v[57:58], s[8:9], -v[180:181]
	v_fma_f64 v[180:181], v[57:58], s[8:9], v[180:181]
	v_add_f64 v[158:159], v[166:167], v[158:159]
	v_fma_f64 v[166:167], v[27:28], s[36:37], v[168:169]
	v_add_f64 v[154:155], v[162:163], v[156:157]
	v_fma_f64 v[156:157], v[25:26], s[36:37], -v[182:183]
	v_fma_f64 v[162:163], v[84:85], s[44:45], -v[186:187]
	v_add_f64 v[164:165], v[174:175], v[164:165]
	v_mul_f64 v[174:175], v[59:60], s[54:55]
	v_fma_f64 v[186:187], v[84:85], s[44:45], v[186:187]
	v_add_f64 v[160:161], v[170:171], v[160:161]
	v_fma_f64 v[170:171], v[25:26], s[36:37], v[182:183]
	v_mul_f64 v[182:183], v[47:48], s[62:63]
	v_fma_f64 v[168:169], v[27:28], s[36:37], -v[168:169]
	v_add_f64 v[154:155], v[156:157], v[154:155]
	v_add_f64 v[156:157], v[162:163], v[140:141]
	v_fma_f64 v[162:163], v[78:79], s[44:45], v[176:177]
	v_add_f64 v[140:141], v[166:167], v[158:159]
	v_fma_f64 v[158:159], v[55:56], s[8:9], v[174:175]
	v_mul_f64 v[166:167], v[63:64], s[50:51]
	v_add_f64 v[144:145], v[186:187], v[144:145]
	v_fma_f64 v[176:177], v[78:79], s[44:45], -v[176:177]
	v_fma_f64 v[174:175], v[55:56], s[8:9], -v[174:175]
	v_add_f64 v[164:165], v[178:179], v[164:165]
	v_add_f64 v[160:161], v[170:171], v[160:161]
	v_mul_f64 v[178:179], v[61:62], s[26:27]
	v_add_f64 v[156:157], v[172:173], v[156:157]
	v_add_f64 v[146:147], v[162:163], v[146:147]
	v_fma_f64 v[162:163], v[51:52], s[20:21], -v[184:185]
	v_mul_f64 v[172:173], v[67:68], s[40:41]
	v_fma_f64 v[184:185], v[51:52], s[20:21], v[184:185]
	v_add_f64 v[144:145], v[180:181], v[144:145]
	v_add_f64 v[142:143], v[176:177], v[142:143]
	v_mul_f64 v[176:177], v[65:66], s[40:41]
	v_mul_f64 v[180:181], v[53:54], s[62:63]
	v_add_f64 v[164:165], v[168:169], v[164:165]
	v_mul_f64 v[168:169], v[59:60], s[26:27]
	v_add_f64 v[146:147], v[158:159], v[146:147]
	v_add_f64 v[156:157], v[162:163], v[156:157]
	v_fma_f64 v[158:159], v[49:50], s[20:21], v[166:167]
	v_fma_f64 v[162:163], v[41:42], s[38:39], -v[172:173]
	v_fma_f64 v[166:167], v[49:50], s[20:21], -v[166:167]
	v_add_f64 v[142:143], v[174:175], v[142:143]
	v_mul_f64 v[174:175], v[35:36], s[26:27]
	v_add_f64 v[144:145], v[184:185], v[144:145]
	v_fma_f64 v[172:173], v[41:42], s[38:39], v[172:173]
	v_mul_f64 v[184:185], v[100:101], s[58:59]
	v_fma_f64 v[170:171], v[43:44], s[38:39], -v[176:177]
	v_add_f64 v[146:147], v[158:159], v[146:147]
	v_add_f64 v[156:157], v[162:163], v[156:157]
	v_fma_f64 v[158:159], v[43:44], s[38:39], v[176:177]
	v_fma_f64 v[162:163], v[37:38], s[12:13], -v[180:181]
	v_add_f64 v[142:143], v[166:167], v[142:143]
	v_fma_f64 v[166:167], v[25:26], s[22:23], -v[174:175]
	v_mul_f64 v[176:177], v[98:99], s[58:59]
	v_add_f64 v[144:145], v[172:173], v[144:145]
	v_fma_f64 v[172:173], v[84:85], s[28:29], -v[184:185]
	v_fma_f64 v[180:181], v[37:38], s[12:13], v[180:181]
	v_fma_f64 v[184:185], v[84:85], s[28:29], v[184:185]
	;; [unrolled: 1-line block ×3, first 2 shown]
	v_add_f64 v[146:147], v[158:159], v[146:147]
	v_add_f64 v[156:157], v[162:163], v[156:157]
	v_fma_f64 v[158:159], v[39:40], s[12:13], v[182:183]
	v_mul_f64 v[162:163], v[33:34], s[26:27]
	v_add_f64 v[142:143], v[170:171], v[142:143]
	v_fma_f64 v[170:171], v[57:58], s[22:23], -v[178:179]
	v_add_f64 v[136:137], v[172:173], v[136:137]
	v_mul_f64 v[172:173], v[69:70], s[46:47]
	v_add_f64 v[144:145], v[180:181], v[144:145]
	v_fma_f64 v[180:181], v[39:40], s[12:13], -v[182:183]
	v_mul_f64 v[182:183], v[67:68], s[62:63]
	v_add_f64 v[128:129], v[184:185], v[128:129]
	v_fma_f64 v[178:179], v[57:58], s[22:23], v[178:179]
	v_mul_f64 v[184:185], v[33:34], s[40:41]
	v_add_f64 v[156:157], v[166:167], v[156:157]
	v_add_f64 v[146:147], v[158:159], v[146:147]
	v_fma_f64 v[158:159], v[27:28], s[22:23], v[162:163]
	v_fma_f64 v[166:167], v[78:79], s[28:29], v[176:177]
	v_fma_f64 v[176:177], v[78:79], s[28:29], -v[176:177]
	v_add_f64 v[136:137], v[170:171], v[136:137]
	v_fma_f64 v[170:171], v[51:52], s[44:45], -v[172:173]
	v_fma_f64 v[162:163], v[27:28], s[22:23], -v[162:163]
	v_add_f64 v[142:143], v[180:181], v[142:143]
	v_mul_f64 v[180:181], v[65:66], s[62:63]
	v_fma_f64 v[172:173], v[51:52], s[44:45], v[172:173]
	v_add_f64 v[128:129], v[178:179], v[128:129]
	v_fma_f64 v[178:179], v[27:28], s[38:39], v[184:185]
	v_add_f64 v[144:145], v[174:175], v[144:145]
	v_mul_f64 v[174:175], v[100:101], s[52:53]
	v_mul_f64 v[100:101], v[100:101], s[56:57]
	v_add_f64 v[146:147], v[158:159], v[146:147]
	v_add_f64 v[132:133], v[166:167], v[132:133]
	v_fma_f64 v[158:159], v[55:56], s[22:23], v[168:169]
	v_mul_f64 v[166:167], v[63:64], s[46:47]
	v_add_f64 v[136:137], v[170:171], v[136:137]
	v_fma_f64 v[170:171], v[41:42], s[12:13], -v[182:183]
	v_add_f64 v[126:127], v[176:177], v[126:127]
	v_fma_f64 v[168:169], v[55:56], s[22:23], -v[168:169]
	v_mul_f64 v[176:177], v[35:36], s[40:41]
	v_add_f64 v[142:143], v[162:163], v[142:143]
	v_mul_f64 v[162:163], v[98:99], s[52:53]
	v_add_f64 v[128:129], v[172:173], v[128:129]
	v_fma_f64 v[172:173], v[41:42], s[12:13], v[182:183]
	v_mul_f64 v[182:183], v[59:60], s[42:43]
	v_mul_f64 v[98:99], v[98:99], s[56:57]
	;; [unrolled: 1-line block ×3, first 2 shown]
	v_add_f64 v[132:133], v[158:159], v[132:133]
	v_fma_f64 v[158:159], v[49:50], s[44:45], v[166:167]
	v_fma_f64 v[166:167], v[49:50], s[44:45], -v[166:167]
	v_add_f64 v[136:137], v[170:171], v[136:137]
	v_mul_f64 v[170:171], v[53:54], s[48:49]
	v_add_f64 v[126:127], v[168:169], v[126:127]
	v_fma_f64 v[168:169], v[25:26], s[38:39], -v[176:177]
	v_add_f64 v[128:129], v[172:173], v[128:129]
	v_mul_f64 v[172:173], v[69:70], s[60:61]
	v_mul_f64 v[69:70], v[69:70], s[54:55]
	v_add_f64 v[132:133], v[158:159], v[132:133]
	v_fma_f64 v[158:159], v[43:44], s[12:13], v[180:181]
	v_add_f64 v[126:127], v[166:167], v[126:127]
	v_fma_f64 v[166:167], v[43:44], s[12:13], -v[180:181]
	v_fma_f64 v[180:181], v[78:79], s[20:21], v[162:163]
	v_fma_f64 v[162:163], v[78:79], s[20:21], -v[162:163]
	v_add_f64 v[132:133], v[158:159], v[132:133]
	v_fma_f64 v[158:159], v[37:38], s[8:9], -v[170:171]
	v_fma_f64 v[170:171], v[37:38], s[8:9], v[170:171]
	v_add_f64 v[126:127], v[166:167], v[126:127]
	v_add_f64 v[122:123], v[180:181], v[122:123]
	v_mul_f64 v[180:181], v[63:64], s[60:61]
	v_add_f64 v[118:119], v[162:163], v[118:119]
	v_add_f64 v[136:137], v[158:159], v[136:137]
	v_mul_f64 v[158:159], v[47:48], s[48:49]
	v_add_f64 v[128:129], v[170:171], v[128:129]
	v_fma_f64 v[170:171], v[55:56], s[12:13], -v[182:183]
	v_add_f64 v[136:137], v[168:169], v[136:137]
	v_fma_f64 v[186:187], v[39:40], s[8:9], v[158:159]
	v_fma_f64 v[168:169], v[84:85], s[20:21], -v[174:175]
	v_fma_f64 v[174:175], v[84:85], s[20:21], v[174:175]
	v_add_f64 v[118:119], v[170:171], v[118:119]
	v_add_f64 v[132:133], v[186:187], v[132:133]
	;; [unrolled: 1-line block ×3, first 2 shown]
	v_fma_f64 v[168:169], v[55:56], s[12:13], v[182:183]
	v_add_f64 v[120:121], v[174:175], v[120:121]
	v_fma_f64 v[174:175], v[84:85], s[22:23], -v[100:101]
	v_fma_f64 v[100:101], v[84:85], s[22:23], v[100:101]
	v_fma_f64 v[84:85], v[84:85], s[8:9], v[88:89]
	;; [unrolled: 1-line block ×3, first 2 shown]
	v_fma_f64 v[98:99], v[78:79], s[22:23], -v[98:99]
	v_fma_f64 v[78:79], v[78:79], s[8:9], -v[86:87]
	v_mul_f64 v[86:87], v[31:32], s[54:55]
	v_add_f64 v[132:133], v[178:179], v[132:133]
	v_mul_f64 v[178:179], v[61:62], s[42:43]
	v_mul_f64 v[61:62], v[61:62], s[46:47]
	v_add_f64 v[122:123], v[168:169], v[122:123]
	v_fma_f64 v[168:169], v[49:50], s[36:37], v[180:181]
	v_add_f64 v[116:117], v[174:175], v[116:117]
	v_add_f64 v[100:101], v[100:101], v[112:113]
	;; [unrolled: 1-line block ×4, first 2 shown]
	v_fma_f64 v[110:111], v[55:56], s[44:45], v[59:60]
	v_fma_f64 v[162:163], v[21:22], s[8:9], -v[86:87]
	v_add_f64 v[84:85], v[84:85], v[106:107]
	v_add_f64 v[78:79], v[78:79], v[108:109]
	v_fma_f64 v[106:107], v[55:56], s[44:45], -v[59:60]
	v_mul_f64 v[108:109], v[63:64], s[54:55]
	v_fma_f64 v[55:56], v[55:56], s[20:21], -v[71:72]
	v_mul_f64 v[112:113], v[67:68], s[26:27]
	v_add_f64 v[59:60], v[134:135], v[148:149]
	v_mul_f64 v[67:68], v[67:68], s[30:31]
	v_mul_f64 v[114:115], v[29:30], s[30:31]
	v_fma_f64 v[86:87], v[21:22], s[8:9], v[86:87]
	v_fma_f64 v[166:167], v[57:58], s[12:13], -v[178:179]
	v_fma_f64 v[178:179], v[57:58], s[12:13], v[178:179]
	v_fma_f64 v[174:175], v[57:58], s[44:45], -v[61:62]
	v_fma_f64 v[61:62], v[57:58], s[44:45], v[61:62]
	v_fma_f64 v[57:58], v[57:58], s[20:21], v[80:81]
	v_add_f64 v[122:123], v[168:169], v[122:123]
	v_mul_f64 v[168:169], v[31:32], s[30:31]
	v_add_f64 v[88:89], v[110:111], v[88:89]
	v_add_f64 v[63:64], v[162:163], v[154:155]
	v_fma_f64 v[162:163], v[51:52], s[36:37], v[172:173]
	v_fma_f64 v[154:155], v[39:40], s[8:9], -v[158:159]
	v_add_f64 v[98:99], v[106:107], v[98:99]
	v_fma_f64 v[106:107], v[49:50], s[8:9], v[108:109]
	v_fma_f64 v[108:109], v[49:50], s[8:9], -v[108:109]
	v_add_f64 v[55:56], v[55:56], v[78:79]
	v_fma_f64 v[158:159], v[41:42], s[22:23], -v[112:113]
	v_mul_f64 v[78:79], v[47:48], s[40:41]
	v_fma_f64 v[112:113], v[41:42], s[22:23], v[112:113]
	v_mul_f64 v[47:48], v[47:48], s[52:53]
	v_fma_f64 v[148:149], v[23:24], s[36:37], v[114:115]
	v_add_f64 v[124:125], v[166:167], v[124:125]
	v_fma_f64 v[166:167], v[51:52], s[36:37], -v[172:173]
	v_add_f64 v[120:121], v[178:179], v[120:121]
	v_mul_f64 v[178:179], v[65:66], s[26:27]
	v_add_f64 v[116:117], v[174:175], v[116:117]
	v_add_f64 v[61:62], v[61:62], v[100:101]
	v_fma_f64 v[100:101], v[51:52], s[8:9], -v[69:70]
	v_mul_f64 v[65:66], v[65:66], s[30:31]
	v_fma_f64 v[69:70], v[51:52], s[8:9], v[69:70]
	v_add_f64 v[57:58], v[57:58], v[84:85]
	v_fma_f64 v[51:52], v[51:52], s[12:13], v[94:95]
	v_mul_f64 v[84:85], v[53:54], s[40:41]
	v_mul_f64 v[53:54], v[53:54], s[52:53]
	v_add_f64 v[88:89], v[106:107], v[88:89]
	v_fma_f64 v[106:107], v[41:42], s[36:37], -v[67:68]
	v_fma_f64 v[67:68], v[41:42], s[36:37], v[67:68]
	v_fma_f64 v[41:42], v[41:42], s[28:29], v[75:76]
	v_add_f64 v[126:127], v[154:155], v[126:127]
	v_mul_f64 v[154:155], v[35:36], s[54:55]
	v_mul_f64 v[75:76], v[33:34], s[54:55]
	;; [unrolled: 1-line block ×5, first 2 shown]
	v_add_f64 v[124:125], v[166:167], v[124:125]
	v_mul_f64 v[166:167], v[29:30], s[54:55]
	v_fma_f64 v[110:111], v[43:44], s[22:23], v[178:179]
	v_add_f64 v[120:121], v[162:163], v[120:121]
	v_fma_f64 v[71:72], v[21:22], s[36:37], -v[168:169]
	v_add_f64 v[100:101], v[100:101], v[116:117]
	v_fma_f64 v[116:117], v[43:44], s[36:37], v[65:66]
	v_fma_f64 v[65:66], v[43:44], s[36:37], -v[65:66]
	v_add_f64 v[61:62], v[69:70], v[61:62]
	v_add_f64 v[51:52], v[51:52], v[57:58]
	;; [unrolled: 1-line block ×3, first 2 shown]
	v_fma_f64 v[98:99], v[37:38], s[38:39], -v[84:85]
	v_fma_f64 v[108:109], v[39:40], s[38:39], v[78:79]
	v_fma_f64 v[84:85], v[37:38], s[38:39], v[84:85]
	v_fma_f64 v[78:79], v[39:40], s[38:39], -v[78:79]
	v_fma_f64 v[57:58], v[27:28], s[38:39], -v[184:185]
	v_fma_f64 v[168:169], v[21:22], s[36:37], v[168:169]
	v_add_f64 v[124:125], v[158:159], v[124:125]
	v_fma_f64 v[80:81], v[23:24], s[8:9], v[166:167]
	v_fma_f64 v[134:135], v[23:24], s[8:9], -v[166:167]
	v_fma_f64 v[166:167], v[49:50], s[36:37], -v[180:181]
	;; [unrolled: 1-line block ×3, first 2 shown]
	v_add_f64 v[110:111], v[110:111], v[122:123]
	v_fma_f64 v[122:123], v[43:44], s[22:23], -v[178:179]
	v_fma_f64 v[43:44], v[43:44], s[28:29], -v[82:83]
	v_add_f64 v[82:83], v[112:113], v[120:121]
	v_add_f64 v[100:101], v[106:107], v[100:101]
	;; [unrolled: 1-line block ×3, first 2 shown]
	v_fma_f64 v[106:107], v[37:38], s[20:21], -v[53:54]
	v_fma_f64 v[116:117], v[39:40], s[20:21], v[47:48]
	v_fma_f64 v[53:54], v[37:38], s[20:21], v[53:54]
	v_fma_f64 v[47:48], v[39:40], s[20:21], -v[47:48]
	v_add_f64 v[41:42], v[41:42], v[51:52]
	v_fma_f64 v[37:38], v[37:38], s[36:37], v[73:74]
	v_fma_f64 v[39:40], v[39:40], s[36:37], -v[90:91]
	v_add_f64 v[61:62], v[67:68], v[61:62]
	v_add_f64 v[65:66], v[65:66], v[69:70]
	v_mul_f64 v[51:52], v[31:32], s[24:25]
	v_mul_f64 v[73:74], v[29:30], s[24:25]
	v_add_f64 v[67:68], v[98:99], v[124:125]
	v_fma_f64 v[98:99], v[25:26], s[8:9], -v[154:155]
	v_mul_f64 v[92:93], v[29:30], s[52:53]
	v_add_f64 v[118:119], v[166:167], v[118:119]
	v_add_f64 v[49:50], v[49:50], v[55:56]
	v_fma_f64 v[55:56], v[25:26], s[38:39], v[176:177]
	v_add_f64 v[69:70], v[108:109], v[110:111]
	v_mul_f64 v[31:32], v[31:32], s[62:63]
	v_add_f64 v[82:83], v[84:85], v[82:83]
	v_fma_f64 v[84:85], v[25:26], s[8:9], v[154:155]
	v_mul_f64 v[29:30], v[29:30], s[62:63]
	v_add_f64 v[90:91], v[106:107], v[100:101]
	v_fma_f64 v[100:101], v[25:26], s[28:29], -v[35:36]
	v_fma_f64 v[106:107], v[27:28], s[28:29], v[33:34]
	v_fma_f64 v[35:36], v[25:26], s[28:29], v[35:36]
	v_fma_f64 v[33:34], v[27:28], s[28:29], -v[33:34]
	v_add_f64 v[37:38], v[37:38], v[41:42]
	v_fma_f64 v[25:26], v[25:26], s[44:45], v[45:46]
	v_add_f64 v[88:89], v[116:117], v[88:89]
	v_add_f64 v[53:54], v[53:54], v[61:62]
	;; [unrolled: 1-line block ×3, first 2 shown]
	v_fma_f64 v[41:42], v[21:22], s[20:21], v[94:95]
	v_fma_f64 v[61:62], v[21:22], s[20:21], -v[94:95]
	v_add_f64 v[57:58], v[57:58], v[126:127]
	v_fma_f64 v[108:109], v[23:24], s[20:21], v[92:93]
	v_add_f64 v[112:113], v[122:123], v[118:119]
	v_add_f64 v[43:44], v[43:44], v[49:50]
	v_fma_f64 v[49:50], v[27:28], s[8:9], v[75:76]
	v_fma_f64 v[75:76], v[27:28], s[8:9], -v[75:76]
	v_fma_f64 v[27:28], v[27:28], s[44:45], -v[96:97]
	v_add_f64 v[55:56], v[55:56], v[128:129]
	v_fma_f64 v[92:93], v[23:24], s[20:21], -v[92:93]
	v_fma_f64 v[94:95], v[23:24], s[36:37], -v[114:115]
	v_add_f64 v[65:66], v[80:81], v[140:141]
	v_add_f64 v[96:97], v[25:26], v[37:38]
	;; [unrolled: 1-line block ×12, first 2 shown]
	v_fma_f64 v[49:50], v[21:22], s[28:29], -v[51:52]
	v_fma_f64 v[67:68], v[23:24], s[28:29], v[73:74]
	v_add_f64 v[69:70], v[84:85], v[82:83]
	v_fma_f64 v[51:52], v[21:22], s[28:29], v[51:52]
	v_add_f64 v[82:83], v[106:107], v[88:89]
	v_fma_f64 v[84:85], v[21:22], s[12:13], -v[31:32]
	v_fma_f64 v[88:89], v[23:24], s[12:13], v[29:30]
	v_fma_f64 v[31:32], v[21:22], s[12:13], v[31:32]
	v_fma_f64 v[73:74], v[23:24], s[28:29], -v[73:74]
	v_add_f64 v[37:38], v[41:42], v[55:56]
	v_add_f64 v[75:76], v[75:76], v[78:79]
	;; [unrolled: 1-line block ×4, first 2 shown]
	v_fma_f64 v[100:101], v[21:22], s[38:39], v[102:103]
	v_fma_f64 v[102:103], v[23:24], s[38:39], -v[104:105]
	v_fma_f64 v[90:91], v[23:24], s[12:13], -v[29:30]
	v_add_f64 v[27:28], v[148:149], v[146:147]
	v_add_f64 v[41:42], v[49:50], v[43:44]
	;; [unrolled: 1-line block ×11, first 2 shown]
	v_mad_u32_u24 v57, 0x110, v152, v153
	v_add_f64 v[49:50], v[84:85], v[78:79]
	v_add_f64 v[67:68], v[100:101], v[96:97]
	;; [unrolled: 1-line block ×5, first 2 shown]
	ds_write_b128 v57, v[13:16]
	ds_write_b128 v57, v[1:4] offset:16
	ds_write_b128 v57, v[5:8] offset:32
	;; [unrolled: 1-line block ×15, first 2 shown]
	v_lshlrev_b32_e32 v9, 8, v152
	ds_write_b128 v57, v[67:70] offset:256
	s_waitcnt lgkmcnt(0)
	s_barrier
	buffer_gl0_inv
	s_clause 0xf
	global_load_dwordx4 v[61:64], v9, s[34:35]
	global_load_dwordx4 v[78:81], v9, s[34:35] offset:16
	global_load_dwordx4 v[5:8], v9, s[34:35] offset:32
	;; [unrolled: 1-line block ×15, first 2 shown]
	ds_read_b128 v[65:68], v150 offset:272
	ds_read_b128 v[9:12], v151
	ds_read_b128 v[88:91], v150 offset:544
	ds_read_b128 v[69:72], v150 offset:816
	s_waitcnt vmcnt(15) lgkmcnt(3)
	v_mul_f64 v[73:74], v[67:68], v[63:64]
	v_mul_f64 v[63:64], v[65:66], v[63:64]
	s_waitcnt vmcnt(14) lgkmcnt(1)
	v_mul_f64 v[86:87], v[90:91], v[80:81]
	v_mul_f64 v[92:93], v[88:89], v[80:81]
	s_waitcnt vmcnt(13) lgkmcnt(0)
	v_mul_f64 v[96:97], v[71:72], v[7:8]
	v_fma_f64 v[82:83], v[65:66], v[61:62], -v[73:74]
	v_fma_f64 v[84:85], v[67:68], v[61:62], v[63:64]
	v_fma_f64 v[80:81], v[88:89], v[78:79], -v[86:87]
	v_fma_f64 v[78:79], v[90:91], v[78:79], v[92:93]
	v_mul_f64 v[86:87], v[69:70], v[7:8]
	ds_read_b128 v[65:68], v150 offset:1088
	ds_read_b128 v[73:76], v150 offset:4352
	v_fma_f64 v[7:8], v[69:70], v[5:6], -v[96:97]
	ds_read_b128 v[61:64], v150 offset:1360
	v_add_f64 v[88:89], v[9:10], v[82:83]
	v_add_f64 v[90:91], v[11:12], v[84:85]
	s_waitcnt vmcnt(12) lgkmcnt(2)
	v_mul_f64 v[92:93], v[67:68], v[3:4]
	s_waitcnt vmcnt(11) lgkmcnt(1)
	v_mul_f64 v[94:95], v[73:74], v[59:60]
	v_mul_f64 v[59:60], v[75:76], v[59:60]
	;; [unrolled: 1-line block ×3, first 2 shown]
	v_fma_f64 v[98:99], v[71:72], v[5:6], v[86:87]
	ds_read_b128 v[3:6], v150 offset:4080
	ds_read_b128 v[69:72], v150 offset:1632
	v_add_f64 v[88:89], v[88:89], v[80:81]
	v_add_f64 v[86:87], v[90:91], v[78:79]
	v_fma_f64 v[100:101], v[65:66], v[1:2], -v[92:93]
	v_fma_f64 v[118:119], v[75:76], v[57:58], v[94:95]
	s_waitcnt vmcnt(10) lgkmcnt(2)
	v_mul_f64 v[75:76], v[63:64], v[55:56]
	v_fma_f64 v[120:121], v[73:74], v[57:58], -v[59:60]
	v_mul_f64 v[59:60], v[61:62], v[55:56]
	v_fma_f64 v[94:95], v[67:68], v[1:2], v[96:97]
	s_waitcnt vmcnt(9) lgkmcnt(1)
	v_mul_f64 v[1:2], v[3:4], v[51:52]
	v_mul_f64 v[92:93], v[5:6], v[51:52]
	s_waitcnt vmcnt(8) lgkmcnt(0)
	v_mul_f64 v[96:97], v[71:72], v[47:48]
	v_mul_f64 v[106:107], v[69:70], v[47:48]
	ds_read_b128 v[55:58], v150 offset:3808
	ds_read_b128 v[65:68], v150 offset:1904
	v_add_f64 v[73:74], v[88:89], v[7:8]
	v_add_f64 v[90:91], v[86:87], v[98:99]
	ds_read_b128 v[86:89], v150 offset:2176
	v_add_f64 v[102:103], v[84:85], -v[118:119]
	v_fma_f64 v[75:76], v[61:62], v[53:54], -v[75:76]
	v_add_f64 v[104:105], v[82:83], -v[120:121]
	v_fma_f64 v[63:64], v[63:64], v[53:54], v[59:60]
	ds_read_b128 v[51:54], v150 offset:2448
	v_fma_f64 v[5:6], v[5:6], v[49:50], v[1:2]
	v_fma_f64 v[122:123], v[3:4], v[49:50], -v[92:93]
	s_waitcnt vmcnt(6) lgkmcnt(3)
	v_mul_f64 v[112:113], v[55:56], v[43:44]
	s_waitcnt lgkmcnt(2)
	v_mul_f64 v[110:111], v[67:68], v[39:40]
	v_mul_f64 v[43:44], v[57:58], v[43:44]
	;; [unrolled: 1-line block ×3, first 2 shown]
	v_fma_f64 v[96:97], v[69:70], v[45:46], -v[96:97]
	v_fma_f64 v[71:72], v[71:72], v[45:46], v[106:107]
	ds_read_b128 v[1:4], v150 offset:2720
	ds_read_b128 v[47:50], v150 offset:3536
	v_add_f64 v[82:83], v[82:83], v[120:121]
	v_add_f64 v[84:85], v[84:85], v[118:119]
	;; [unrolled: 1-line block ×4, first 2 shown]
	s_waitcnt vmcnt(5) lgkmcnt(3)
	v_mul_f64 v[114:115], v[88:89], v[35:36]
	v_mul_f64 v[35:36], v[86:87], v[35:36]
	;; [unrolled: 1-line block ×4, first 2 shown]
	ds_read_b128 v[59:62], v150 offset:2992
	ds_read_b128 v[90:93], v150 offset:3264
	s_waitcnt vmcnt(4) lgkmcnt(4)
	v_mul_f64 v[106:107], v[53:54], v[31:32]
	v_mul_f64 v[146:147], v[104:105], s[50:51]
	v_add_f64 v[69:70], v[80:81], -v[122:123]
	v_fma_f64 v[128:129], v[57:58], v[41:42], v[112:113]
	v_fma_f64 v[65:66], v[65:66], v[37:38], -v[110:111]
	v_mul_f64 v[57:58], v[51:52], v[31:32]
	v_fma_f64 v[130:131], v[55:56], v[41:42], -v[43:44]
	s_waitcnt vmcnt(2) lgkmcnt(2)
	v_mul_f64 v[43:44], v[47:48], v[27:28]
	v_fma_f64 v[67:68], v[67:68], v[37:38], v[39:40]
	v_mul_f64 v[27:28], v[49:50], v[27:28]
	v_mul_f64 v[41:42], v[3:4], v[23:24]
	;; [unrolled: 1-line block ×3, first 2 shown]
	v_add_f64 v[31:32], v[78:79], v[5:6]
	v_mul_f64 v[153:154], v[104:105], s[30:31]
	v_mul_f64 v[155:156], v[104:105], s[46:47]
	v_add_f64 v[126:127], v[73:74], v[75:76]
	v_add_f64 v[45:46], v[108:109], v[63:64]
	v_add_f64 v[73:74], v[78:79], -v[5:6]
	s_waitcnt vmcnt(1) lgkmcnt(1)
	v_mul_f64 v[55:56], v[61:62], v[19:20]
	v_mul_f64 v[19:20], v[59:60], v[19:20]
	v_fma_f64 v[86:87], v[86:87], v[33:34], -v[114:115]
	s_waitcnt vmcnt(0) lgkmcnt(0)
	v_mul_f64 v[108:109], v[92:93], v[15:16]
	v_fma_f64 v[88:89], v[88:89], v[33:34], v[35:36]
	v_fma_f64 v[35:36], v[82:83], s[22:23], -v[116:117]
	v_fma_f64 v[110:111], v[84:85], s[22:23], v[124:125]
	v_add_f64 v[33:34], v[80:81], v[122:123]
	v_mul_f64 v[78:79], v[69:70], s[48:49]
	v_add_f64 v[37:38], v[98:99], -v[128:129]
	v_fma_f64 v[132:133], v[53:54], v[29:30], v[57:58]
	v_add_f64 v[39:40], v[7:8], -v[130:131]
	v_fma_f64 v[134:135], v[49:50], v[25:26], v[43:44]
	v_mul_f64 v[15:16], v[90:91], v[15:16]
	v_fma_f64 v[136:137], v[47:48], v[25:26], -v[27:28]
	v_fma_f64 v[1:2], v[1:2], v[21:22], -v[41:42]
	v_fma_f64 v[3:4], v[3:4], v[21:22], v[23:24]
	v_mul_f64 v[41:42], v[102:103], s[24:25]
	v_mul_f64 v[25:26], v[102:103], s[50:51]
	v_add_f64 v[112:113], v[126:127], v[96:97]
	v_add_f64 v[45:46], v[45:46], v[71:72]
	v_mul_f64 v[80:81], v[73:74], s[48:49]
	v_fma_f64 v[126:127], v[51:52], v[29:30], -v[106:107]
	v_fma_f64 v[21:22], v[59:60], v[17:18], -v[55:56]
	v_fma_f64 v[17:18], v[61:62], v[17:18], v[19:20]
	v_fma_f64 v[23:24], v[90:91], v[13:14], -v[108:109]
	v_add_f64 v[29:30], v[7:8], v[130:131]
	v_add_f64 v[49:50], v[9:10], v[35:36]
	;; [unrolled: 1-line block ×4, first 2 shown]
	v_fma_f64 v[57:58], v[31:32], s[8:9], v[78:79]
	v_mul_f64 v[7:8], v[37:38], s[50:51]
	v_mul_f64 v[61:62], v[102:103], s[40:41]
	;; [unrolled: 1-line block ×4, first 2 shown]
	v_fma_f64 v[13:14], v[92:93], v[13:14], v[15:16]
	v_add_f64 v[47:48], v[100:101], -v[136:137]
	v_mul_f64 v[27:28], v[102:103], s[42:43]
	v_mul_f64 v[59:60], v[102:103], s[30:31]
	;; [unrolled: 1-line block ×3, first 2 shown]
	v_fma_f64 v[110:111], v[82:83], s[28:29], -v[41:42]
	v_add_f64 v[43:44], v[112:113], v[65:66]
	v_add_f64 v[53:54], v[45:46], v[67:68]
	v_fma_f64 v[55:56], v[33:34], s[8:9], -v[80:81]
	v_add_f64 v[45:46], v[94:95], -v[134:135]
	v_fma_f64 v[114:115], v[82:83], s[28:29], v[41:42]
	v_add_f64 v[41:42], v[100:101], v[136:137]
	v_fma_f64 v[92:93], v[82:83], s[22:23], v[116:117]
	v_fma_f64 v[102:103], v[82:83], s[20:21], -v[25:26]
	v_fma_f64 v[25:26], v[82:83], s[20:21], v[25:26]
	v_mul_f64 v[116:117], v[104:105], s[48:49]
	v_fma_f64 v[124:125], v[84:85], s[22:23], -v[124:125]
	v_add_f64 v[51:52], v[57:58], v[51:52]
	v_fma_f64 v[57:58], v[29:30], s[20:21], -v[7:8]
	v_fma_f64 v[148:149], v[82:83], s[38:39], -v[61:62]
	v_fma_f64 v[138:139], v[35:36], s[20:21], v[90:91]
	v_fma_f64 v[151:152], v[82:83], s[38:39], v[61:62]
	v_fma_f64 v[98:99], v[82:83], s[8:9], -v[19:20]
	v_fma_f64 v[19:20], v[82:83], s[8:9], v[19:20]
	v_fma_f64 v[106:107], v[82:83], s[12:13], -v[27:28]
	;; [unrolled: 2-line block ×3, first 2 shown]
	v_fma_f64 v[142:143], v[82:83], s[36:37], v[59:60]
	v_add_f64 v[108:109], v[43:44], v[86:87]
	v_add_f64 v[112:113], v[53:54], v[88:89]
	;; [unrolled: 1-line block ×3, first 2 shown]
	v_mul_f64 v[100:101], v[45:46], s[42:43]
	v_add_f64 v[43:44], v[94:95], v[134:135]
	v_mul_f64 v[94:95], v[47:48], s[42:43]
	v_add_f64 v[53:54], v[63:64], -v[13:14]
	v_add_f64 v[55:56], v[75:76], -v[23:24]
	v_fma_f64 v[144:145], v[82:83], s[44:45], -v[15:16]
	v_fma_f64 v[15:16], v[82:83], s[44:45], v[15:16]
	v_mul_f64 v[82:83], v[104:105], s[42:43]
	v_fma_f64 v[157:158], v[84:85], s[8:9], v[116:117]
	v_fma_f64 v[116:117], v[84:85], s[8:9], -v[116:117]
	v_fma_f64 v[169:170], v[84:85], s[20:21], v[146:147]
	v_add_f64 v[138:139], v[138:139], v[51:52]
	v_add_f64 v[51:52], v[63:64], v[13:14]
	v_add_f64 v[59:60], v[96:97], -v[21:22]
	v_fma_f64 v[146:147], v[84:85], s[20:21], -v[146:147]
	v_fma_f64 v[177:178], v[84:85], s[36:37], v[153:154]
	v_fma_f64 v[153:154], v[84:85], s[36:37], -v[153:154]
	v_fma_f64 v[179:180], v[84:85], s[44:45], v[155:156]
	v_add_f64 v[92:93], v[9:10], v[92:93]
	v_add_f64 v[61:62], v[108:109], v[126:127]
	;; [unrolled: 1-line block ×3, first 2 shown]
	v_mul_f64 v[112:113], v[104:105], s[24:25]
	v_mul_f64 v[104:105], v[104:105], s[40:41]
	v_add_f64 v[159:160], v[57:58], v[49:50]
	v_fma_f64 v[161:162], v[41:42], s[12:13], -v[100:101]
	v_fma_f64 v[163:164], v[43:44], s[12:13], v[94:95]
	v_add_f64 v[49:50], v[75:76], v[23:24]
	v_mul_f64 v[165:166], v[53:54], s[24:25]
	v_mul_f64 v[167:168], v[55:56], s[24:25]
	v_add_f64 v[57:58], v[71:72], -v[17:18]
	v_fma_f64 v[171:172], v[84:85], s[12:13], v[82:83]
	v_fma_f64 v[82:83], v[84:85], s[12:13], -v[82:83]
	v_fma_f64 v[80:81], v[33:34], s[8:9], v[80:81]
	v_fma_f64 v[155:156], v[84:85], s[44:45], -v[155:156]
	v_add_f64 v[63:64], v[71:72], v[17:18]
	v_add_f64 v[71:72], v[67:68], -v[3:4]
	v_mul_f64 v[183:184], v[59:60], s[30:31]
	v_fma_f64 v[7:8], v[29:30], s[20:21], v[7:8]
	v_add_f64 v[187:188], v[9:10], v[102:103]
	v_add_f64 v[67:68], v[67:68], v[3:4]
	;; [unrolled: 1-line block ×5, first 2 shown]
	v_fma_f64 v[173:174], v[84:85], s[28:29], v[112:113]
	v_fma_f64 v[175:176], v[84:85], s[28:29], -v[112:113]
	v_fma_f64 v[181:182], v[84:85], s[38:39], v[104:105]
	v_add_f64 v[112:113], v[161:162], v[159:160]
	v_add_f64 v[138:139], v[163:164], v[138:139]
	;; [unrolled: 1-line block ×3, first 2 shown]
	v_fma_f64 v[159:160], v[49:50], s[28:29], -v[165:166]
	v_fma_f64 v[161:162], v[51:52], s[28:29], v[167:168]
	v_mul_f64 v[163:164], v[57:58], s[30:31]
	v_fma_f64 v[185:186], v[84:85], s[38:39], -v[104:105]
	v_add_f64 v[84:85], v[11:12], v[124:125]
	v_fma_f64 v[96:97], v[31:32], s[8:9], -v[78:79]
	v_add_f64 v[104:105], v[9:10], v[98:99]
	v_add_f64 v[92:93], v[80:81], v[92:93]
	v_add_f64 v[80:81], v[88:89], -v[132:133]
	v_add_f64 v[78:79], v[86:87], -v[126:127]
	v_add_f64 v[106:107], v[9:10], v[140:141]
	v_mul_f64 v[140:141], v[69:70], s[42:43]
	v_add_f64 v[124:125], v[11:12], v[157:158]
	v_add_f64 v[19:20], v[9:10], v[19:20]
	;; [unrolled: 1-line block ×4, first 2 shown]
	v_add_f64 v[75:76], v[65:66], -v[1:2]
	v_add_f64 v[65:66], v[65:66], v[1:2]
	v_add_f64 v[157:158], v[11:12], v[116:117]
	;; [unrolled: 1-line block ×7, first 2 shown]
	v_fma_f64 v[138:139], v[61:62], s[36:37], -v[163:164]
	v_mul_f64 v[161:162], v[71:72], s[46:47]
	v_fma_f64 v[159:160], v[63:64], s[36:37], v[183:184]
	v_add_f64 v[112:113], v[11:12], v[82:83]
	v_add_f64 v[82:83], v[88:89], v[132:133]
	;; [unrolled: 1-line block ×4, first 2 shown]
	v_mul_f64 v[132:133], v[78:79], s[40:41]
	v_add_f64 v[88:89], v[9:10], v[148:149]
	v_mul_f64 v[15:16], v[73:74], s[30:31]
	v_mul_f64 v[148:149], v[39:40], s[30:31]
	v_add_f64 v[116:117], v[9:10], v[27:28]
	v_add_f64 v[1:2], v[21:22], v[23:24]
	;; [unrolled: 1-line block ×4, first 2 shown]
	v_fma_f64 v[17:18], v[35:36], s[20:21], -v[90:91]
	v_mul_f64 v[21:22], v[75:76], s[46:47]
	v_add_f64 v[23:24], v[11:12], v[171:172]
	v_fma_f64 v[90:91], v[41:42], s[12:13], v[100:101]
	v_mul_f64 v[171:172], v[73:74], s[42:43]
	v_add_f64 v[84:85], v[86:87], v[126:127]
	v_mul_f64 v[126:127], v[80:81], s[40:41]
	v_add_f64 v[100:101], v[138:139], v[98:99]
	v_add_f64 v[98:99], v[9:10], v[142:143]
	;; [unrolled: 1-line block ×5, first 2 shown]
	v_mul_f64 v[144:145], v[37:38], s[30:31]
	v_add_f64 v[108:109], v[9:10], v[110:111]
	v_add_f64 v[110:111], v[11:12], v[173:174]
	;; [unrolled: 1-line block ×5, first 2 shown]
	v_fma_f64 v[159:160], v[82:83], s[38:39], v[132:133]
	v_add_f64 v[1:2], v[1:2], v[136:137]
	v_fma_f64 v[136:137], v[65:66], s[44:45], -v[161:162]
	v_add_f64 v[3:4], v[3:4], v[134:135]
	v_add_f64 v[13:14], v[17:18], v[13:14]
	v_fma_f64 v[17:18], v[43:44], s[12:13], -v[94:95]
	v_fma_f64 v[138:139], v[67:68], s[44:45], v[21:22]
	v_add_f64 v[7:8], v[90:91], v[7:8]
	v_fma_f64 v[134:135], v[49:50], s[28:29], v[165:166]
	v_fma_f64 v[142:143], v[33:34], s[12:13], -v[171:172]
	v_add_f64 v[90:91], v[11:12], v[155:156]
	v_fma_f64 v[153:154], v[84:85], s[38:39], -v[126:127]
	v_mul_f64 v[155:156], v[69:70], s[30:31]
	v_add_f64 v[94:95], v[11:12], v[179:180]
	v_fma_f64 v[21:22], v[67:68], s[44:45], -v[21:22]
	v_fma_f64 v[126:127], v[84:85], s[38:39], v[126:127]
	v_fma_f64 v[165:166], v[29:30], s[36:37], -v[144:145]
	v_fma_f64 v[144:145], v[29:30], s[36:37], v[144:145]
	v_mul_f64 v[173:174], v[73:74], s[64:65]
	v_mul_f64 v[175:176], v[69:70], s[64:65]
	;; [unrolled: 1-line block ×3, first 2 shown]
	s_barrier
	v_add_f64 v[1:2], v[1:2], v[130:131]
	v_add_f64 v[130:131], v[136:137], v[100:101]
	v_fma_f64 v[136:137], v[31:32], s[12:13], v[140:141]
	v_add_f64 v[128:129], v[3:4], v[128:129]
	v_add_f64 v[13:14], v[17:18], v[13:14]
	v_fma_f64 v[17:18], v[51:52], s[28:29], -v[167:168]
	v_add_f64 v[138:139], v[138:139], v[102:103]
	v_add_f64 v[7:8], v[134:135], v[7:8]
	v_fma_f64 v[134:135], v[61:62], s[36:37], v[163:164]
	v_add_f64 v[100:101], v[11:12], v[181:182]
	v_fma_f64 v[163:164], v[33:34], s[12:13], v[171:172]
	v_add_f64 v[142:143], v[142:143], v[104:105]
	v_mul_f64 v[167:168], v[45:46], s[40:41]
	v_add_f64 v[104:105], v[9:10], v[151:152]
	v_fma_f64 v[9:10], v[31:32], s[12:13], -v[140:141]
	v_add_f64 v[102:103], v[11:12], v[185:186]
	v_mul_f64 v[140:141], v[37:38], s[66:67]
	v_mul_f64 v[151:152], v[47:48], s[40:41]
	;; [unrolled: 1-line block ×3, first 2 shown]
	buffer_gl0_inv
	v_add_f64 v[11:12], v[1:2], v[122:123]
	v_fma_f64 v[122:123], v[33:34], s[36:37], -v[15:16]
	v_add_f64 v[124:125], v[136:137], v[124:125]
	v_fma_f64 v[136:137], v[35:36], s[36:37], v[148:149]
	v_add_f64 v[1:2], v[153:154], v[130:131]
	v_fma_f64 v[130:131], v[31:32], s[36:37], v[155:156]
	v_mul_f64 v[153:154], v[39:40], s[66:67]
	v_add_f64 v[13:14], v[17:18], v[13:14]
	v_fma_f64 v[17:18], v[63:64], s[36:37], -v[183:184]
	v_add_f64 v[3:4], v[159:160], v[138:139]
	v_add_f64 v[128:129], v[128:129], v[5:6]
	v_add_f64 v[134:135], v[134:135], v[7:8]
	v_fma_f64 v[138:139], v[65:66], s[44:45], v[161:162]
	v_add_f64 v[19:20], v[163:164], v[19:20]
	v_add_f64 v[142:143], v[165:166], v[142:143]
	v_fma_f64 v[159:160], v[41:42], s[38:39], -v[167:168]
	v_mul_f64 v[161:162], v[53:54], s[64:65]
	v_add_f64 v[9:10], v[9:10], v[157:158]
	v_fma_f64 v[148:149], v[35:36], s[36:37], -v[148:149]
	v_mul_f64 v[157:158], v[55:56], s[64:65]
	v_mul_f64 v[165:166], v[47:48], s[58:59]
	v_fma_f64 v[15:16], v[33:34], s[36:37], v[15:16]
	v_add_f64 v[5:6], v[11:12], v[120:121]
	v_add_f64 v[11:12], v[122:123], v[187:188]
	v_fma_f64 v[120:121], v[29:30], s[38:39], -v[140:141]
	v_mul_f64 v[122:123], v[45:46], s[58:59]
	v_add_f64 v[124:125], v[136:137], v[124:125]
	v_fma_f64 v[136:137], v[43:44], s[38:39], v[151:152]
	v_add_f64 v[130:131], v[130:131], v[169:170]
	v_fma_f64 v[163:164], v[35:36], s[38:39], v[153:154]
	v_add_f64 v[13:14], v[17:18], v[13:14]
	v_fma_f64 v[17:18], v[31:32], s[36:37], -v[155:156]
	v_add_f64 v[7:8], v[128:129], v[118:119]
	v_fma_f64 v[128:129], v[41:42], s[38:39], v[167:168]
	v_add_f64 v[118:119], v[138:139], v[134:135]
	v_add_f64 v[19:20], v[144:145], v[19:20]
	v_fma_f64 v[144:145], v[43:44], s[38:39], -v[151:152]
	v_add_f64 v[134:135], v[159:160], v[142:143]
	v_fma_f64 v[138:139], v[49:50], s[44:45], -v[161:162]
	v_mul_f64 v[142:143], v[57:58], s[58:59]
	v_add_f64 v[9:10], v[148:149], v[9:10]
	v_mul_f64 v[148:149], v[53:54], s[54:55]
	v_mul_f64 v[151:152], v[59:60], s[58:59]
	v_fma_f64 v[155:156], v[43:44], s[28:29], v[165:166]
	v_mul_f64 v[159:160], v[55:56], s[54:55]
	v_add_f64 v[15:16], v[15:16], v[189:190]
	v_add_f64 v[11:12], v[120:121], v[11:12]
	v_fma_f64 v[120:121], v[41:42], s[28:29], -v[122:123]
	v_fma_f64 v[140:141], v[29:30], s[38:39], v[140:141]
	v_add_f64 v[124:125], v[136:137], v[124:125]
	v_fma_f64 v[136:137], v[51:52], s[44:45], v[157:158]
	v_add_f64 v[130:131], v[163:164], v[130:131]
	v_add_f64 v[13:14], v[21:22], v[13:14]
	;; [unrolled: 1-line block ×3, first 2 shown]
	v_fma_f64 v[146:147], v[35:36], s[38:39], -v[153:154]
	v_fma_f64 v[21:22], v[82:83], s[38:39], -v[132:133]
	v_fma_f64 v[153:154], v[51:52], s[44:45], -v[157:158]
	v_add_f64 v[19:20], v[128:129], v[19:20]
	v_fma_f64 v[128:129], v[49:50], s[44:45], v[161:162]
	v_mul_f64 v[157:158], v[73:74], s[40:41]
	v_add_f64 v[132:133], v[138:139], v[134:135]
	v_fma_f64 v[134:135], v[61:62], s[28:29], -v[142:143]
	v_mul_f64 v[138:139], v[71:72], s[52:53]
	v_add_f64 v[144:145], v[144:145], v[9:10]
	v_add_f64 v[9:10], v[126:127], v[118:119]
	v_mul_f64 v[126:127], v[57:58], s[26:27]
	v_mul_f64 v[161:162], v[59:60], s[26:27]
	v_fma_f64 v[122:123], v[41:42], s[28:29], v[122:123]
	v_mul_f64 v[163:164], v[75:76], s[42:43]
	v_add_f64 v[118:119], v[120:121], v[11:12]
	v_fma_f64 v[120:121], v[49:50], s[8:9], -v[148:149]
	v_add_f64 v[15:16], v[140:141], v[15:16]
	v_add_f64 v[124:125], v[136:137], v[124:125]
	v_fma_f64 v[136:137], v[63:64], s[28:29], v[151:152]
	v_add_f64 v[130:131], v[155:156], v[130:131]
	v_fma_f64 v[155:156], v[51:52], s[8:9], v[159:160]
	v_add_f64 v[17:18], v[146:147], v[17:18]
	v_fma_f64 v[140:141], v[43:44], s[28:29], -v[165:166]
	v_add_f64 v[11:12], v[21:22], v[13:14]
	v_mul_f64 v[13:14], v[75:76], s[52:53]
	v_add_f64 v[19:20], v[128:129], v[19:20]
	v_fma_f64 v[21:22], v[61:62], s[28:29], v[142:143]
	v_mul_f64 v[146:147], v[80:81], s[56:57]
	v_add_f64 v[128:129], v[134:135], v[132:133]
	v_fma_f64 v[132:133], v[65:66], s[20:21], -v[138:139]
	v_mul_f64 v[134:135], v[69:70], s[40:41]
	v_add_f64 v[142:143], v[153:154], v[144:145]
	v_fma_f64 v[144:145], v[63:64], s[28:29], -v[151:152]
	v_mul_f64 v[151:152], v[71:72], s[42:43]
	v_mul_f64 v[153:154], v[37:38], s[58:59]
	;; [unrolled: 1-line block ×4, first 2 shown]
	v_add_f64 v[118:119], v[120:121], v[118:119]
	v_fma_f64 v[120:121], v[61:62], s[22:23], -v[126:127]
	v_add_f64 v[15:16], v[122:123], v[15:16]
	v_add_f64 v[124:125], v[136:137], v[124:125]
	v_fma_f64 v[136:137], v[33:34], s[38:39], -v[157:158]
	v_add_f64 v[130:131], v[155:156], v[130:131]
	v_fma_f64 v[155:156], v[63:64], s[22:23], v[161:162]
	v_fma_f64 v[122:123], v[49:50], s[8:9], v[148:149]
	v_add_f64 v[17:18], v[140:141], v[17:18]
	v_fma_f64 v[140:141], v[51:52], s[8:9], -v[159:160]
	v_fma_f64 v[148:149], v[67:68], s[20:21], v[13:14]
	v_mul_f64 v[159:160], v[78:79], s[56:57]
	v_add_f64 v[19:20], v[21:22], v[19:20]
	v_fma_f64 v[21:22], v[65:66], s[20:21], v[138:139]
	v_add_f64 v[128:129], v[132:133], v[128:129]
	v_fma_f64 v[132:133], v[31:32], s[38:39], v[134:135]
	v_mul_f64 v[138:139], v[39:40], s[58:59]
	v_add_f64 v[142:143], v[144:145], v[142:143]
	v_fma_f64 v[13:14], v[67:68], s[20:21], -v[13:14]
	v_fma_f64 v[144:145], v[84:85], s[22:23], -v[146:147]
	;; [unrolled: 1-line block ×3, first 2 shown]
	v_fma_f64 v[146:147], v[84:85], s[22:23], v[146:147]
	ds_write_b128 v150, v[5:8]
	ds_write_b128 v150, v[1:4] offset:272
	v_add_f64 v[118:119], v[120:121], v[118:119]
	v_fma_f64 v[120:121], v[65:66], s[12:13], -v[151:152]
	v_add_f64 v[136:137], v[136:137], v[191:192]
	v_add_f64 v[130:131], v[155:156], v[130:131]
	v_fma_f64 v[155:156], v[67:68], s[12:13], v[163:164]
	v_add_f64 v[15:16], v[122:123], v[15:16]
	v_fma_f64 v[122:123], v[61:62], s[22:23], v[126:127]
	v_add_f64 v[126:127], v[140:141], v[17:18]
	v_fma_f64 v[140:141], v[63:64], s[22:23], -v[161:162]
	v_add_f64 v[124:125], v[148:149], v[124:125]
	v_fma_f64 v[148:149], v[82:83], s[22:23], v[159:160]
	v_add_f64 v[21:22], v[21:22], v[19:20]
	v_add_f64 v[23:24], v[132:133], v[23:24]
	v_fma_f64 v[132:133], v[35:36], s[28:29], v[138:139]
	v_mul_f64 v[161:162], v[47:48], s[56:57]
	v_add_f64 v[142:143], v[13:14], v[142:143]
	v_fma_f64 v[159:160], v[82:83], s[22:23], -v[159:160]
	v_add_f64 v[17:18], v[144:145], v[128:129]
	v_fma_f64 v[144:145], v[33:34], s[38:39], v[157:158]
	v_mul_f64 v[157:158], v[39:40], s[54:55]
	v_add_f64 v[118:119], v[120:121], v[118:119]
	v_fma_f64 v[120:121], v[84:85], s[44:45], -v[165:166]
	v_add_f64 v[136:137], v[167:168], v[136:137]
	v_fma_f64 v[167:168], v[41:42], s[22:23], -v[169:170]
	v_add_f64 v[128:129], v[155:156], v[130:131]
	v_fma_f64 v[130:131], v[82:83], s[44:45], v[171:172]
	v_add_f64 v[122:123], v[122:123], v[15:16]
	v_mul_f64 v[155:156], v[37:38], s[54:55]
	v_add_f64 v[126:127], v[140:141], v[126:127]
	v_fma_f64 v[140:141], v[65:66], s[12:13], v[151:152]
	v_add_f64 v[19:20], v[148:149], v[124:125]
	v_fma_f64 v[124:125], v[31:32], s[38:39], -v[134:135]
	v_fma_f64 v[151:152], v[67:68], s[12:13], -v[163:164]
	v_add_f64 v[13:14], v[146:147], v[21:22]
	v_add_f64 v[132:133], v[132:133], v[23:24]
	v_fma_f64 v[134:135], v[43:44], s[22:23], v[161:162]
	v_mul_f64 v[146:147], v[55:56], s[50:51]
	v_add_f64 v[15:16], v[159:160], v[142:143]
	v_fma_f64 v[142:143], v[33:34], s[44:45], -v[173:174]
	v_fma_f64 v[148:149], v[31:32], s[44:45], v[175:176]
	v_fma_f64 v[159:160], v[33:34], s[44:45], v[173:174]
	v_add_f64 v[116:117], v[144:145], v[116:117]
	v_add_f64 v[21:22], v[120:121], v[118:119]
	v_fma_f64 v[120:121], v[49:50], s[20:21], -v[177:178]
	v_add_f64 v[118:119], v[167:168], v[136:137]
	v_mul_f64 v[136:137], v[57:58], s[46:47]
	v_fma_f64 v[144:145], v[84:85], s[44:45], v[165:166]
	v_add_f64 v[23:24], v[130:131], v[128:129]
	v_fma_f64 v[128:129], v[31:32], s[44:45], -v[175:176]
	v_fma_f64 v[130:131], v[29:30], s[28:29], v[153:154]
	v_mul_f64 v[153:154], v[47:48], s[50:51]
	v_add_f64 v[122:123], v[140:141], v[122:123]
	v_mul_f64 v[140:141], v[73:74], s[58:59]
	v_add_f64 v[112:113], v[124:125], v[112:113]
	v_fma_f64 v[124:125], v[35:36], s[28:29], -v[138:139]
	v_mul_f64 v[138:139], v[69:70], s[58:59]
	v_add_f64 v[126:127], v[151:152], v[126:127]
	v_add_f64 v[132:133], v[134:135], v[132:133]
	v_fma_f64 v[134:135], v[51:52], s[20:21], v[146:147]
	v_mul_f64 v[151:152], v[45:46], s[50:51]
	v_add_f64 v[108:109], v[142:143], v[108:109]
	v_add_f64 v[110:111], v[148:149], v[110:111]
	v_fma_f64 v[142:143], v[29:30], s[8:9], -v[155:156]
	v_fma_f64 v[148:149], v[35:36], s[8:9], v[157:158]
	v_add_f64 v[159:160], v[159:160], v[25:26]
	v_fma_f64 v[155:156], v[29:30], s[8:9], v[155:156]
	v_add_f64 v[118:119], v[120:121], v[118:119]
	v_fma_f64 v[120:121], v[61:62], s[44:45], -v[136:137]
	v_mul_f64 v[165:166], v[37:38], s[26:27]
	v_mul_f64 v[167:168], v[59:60], s[46:47]
	v_add_f64 v[114:115], v[128:129], v[114:115]
	v_fma_f64 v[128:129], v[35:36], s[8:9], -v[157:158]
	v_add_f64 v[116:117], v[130:131], v[116:117]
	v_fma_f64 v[130:131], v[41:42], s[22:23], v[169:170]
	v_fma_f64 v[163:164], v[33:34], s[28:29], -v[140:141]
	v_add_f64 v[25:26], v[144:145], v[122:123]
	v_add_f64 v[112:113], v[124:125], v[112:113]
	v_fma_f64 v[124:125], v[43:44], s[22:23], -v[161:162]
	v_fma_f64 v[122:123], v[31:32], s[28:29], v[138:139]
	v_mul_f64 v[144:145], v[39:40], s[26:27]
	v_add_f64 v[132:133], v[134:135], v[132:133]
	v_fma_f64 v[134:135], v[41:42], s[20:21], -v[151:152]
	v_mul_f64 v[161:162], v[55:56], s[40:41]
	v_fma_f64 v[151:152], v[41:42], s[20:21], v[151:152]
	v_add_f64 v[108:109], v[142:143], v[108:109]
	v_add_f64 v[110:111], v[148:149], v[110:111]
	v_fma_f64 v[142:143], v[43:44], s[20:21], v[153:154]
	v_mul_f64 v[148:149], v[53:54], s[40:41]
	v_fma_f64 v[157:158], v[82:83], s[44:45], -v[171:172]
	v_add_f64 v[118:119], v[120:121], v[118:119]
	v_add_f64 v[120:121], v[155:156], v[159:160]
	v_mul_f64 v[155:156], v[45:46], s[46:47]
	v_fma_f64 v[159:160], v[63:64], s[44:45], v[167:168]
	v_add_f64 v[114:115], v[128:129], v[114:115]
	v_fma_f64 v[128:129], v[43:44], s[20:21], -v[153:154]
	v_add_f64 v[116:117], v[130:131], v[116:117]
	v_fma_f64 v[130:131], v[49:50], s[20:21], v[177:178]
	v_add_f64 v[106:107], v[163:164], v[106:107]
	v_fma_f64 v[153:154], v[29:30], s[22:23], -v[165:166]
	v_add_f64 v[112:113], v[124:125], v[112:113]
	v_fma_f64 v[124:125], v[51:52], s[20:21], -v[146:147]
	v_add_f64 v[27:28], v[122:123], v[27:28]
	v_fma_f64 v[122:123], v[35:36], s[22:23], v[144:145]
	v_mul_f64 v[146:147], v[47:48], s[46:47]
	v_mul_f64 v[163:164], v[71:72], s[60:61]
	;; [unrolled: 1-line block ×3, first 2 shown]
	v_add_f64 v[108:109], v[134:135], v[108:109]
	v_mul_f64 v[171:172], v[57:58], s[62:63]
	v_add_f64 v[110:111], v[142:143], v[110:111]
	v_fma_f64 v[134:135], v[49:50], s[38:39], -v[148:149]
	v_fma_f64 v[142:143], v[51:52], s[38:39], v[161:162]
	v_mul_f64 v[173:174], v[59:60], s[62:63]
	v_add_f64 v[120:121], v[151:152], v[120:121]
	v_fma_f64 v[148:149], v[49:50], s[38:39], v[148:149]
	v_mul_f64 v[151:152], v[53:54], s[62:63]
	v_add_f64 v[132:133], v[159:160], v[132:133]
	v_add_f64 v[114:115], v[128:129], v[114:115]
	v_fma_f64 v[128:129], v[51:52], s[38:39], -v[161:162]
	v_add_f64 v[116:117], v[130:131], v[116:117]
	v_fma_f64 v[130:131], v[61:62], s[44:45], v[136:137]
	v_add_f64 v[106:107], v[153:154], v[106:107]
	v_fma_f64 v[136:137], v[41:42], s[44:45], -v[155:156]
	v_add_f64 v[112:113], v[124:125], v[112:113]
	v_fma_f64 v[124:125], v[63:64], s[44:45], -v[167:168]
	v_add_f64 v[27:28], v[122:123], v[27:28]
	v_fma_f64 v[122:123], v[43:44], s[44:45], v[146:147]
	v_mul_f64 v[153:154], v[55:56], s[62:63]
	v_fma_f64 v[159:160], v[65:66], s[36:37], -v[163:164]
	v_fma_f64 v[161:162], v[67:68], s[36:37], v[169:170]
	v_mul_f64 v[177:178], v[59:60], s[48:49]
	v_mul_f64 v[175:176], v[71:72], s[26:27]
	v_add_f64 v[108:109], v[134:135], v[108:109]
	v_add_f64 v[110:111], v[142:143], v[110:111]
	v_fma_f64 v[134:135], v[61:62], s[12:13], -v[171:172]
	v_fma_f64 v[142:143], v[63:64], s[12:13], v[173:174]
	v_add_f64 v[120:121], v[148:149], v[120:121]
	v_mul_f64 v[148:149], v[75:76], s[26:27]
	v_fma_f64 v[169:170], v[67:68], s[36:37], -v[169:170]
	v_fma_f64 v[140:141], v[33:34], s[28:29], v[140:141]
	v_add_f64 v[114:115], v[128:129], v[114:115]
	v_fma_f64 v[128:129], v[61:62], s[12:13], v[171:172]
	v_fma_f64 v[171:172], v[63:64], s[12:13], -v[173:174]
	v_add_f64 v[116:117], v[130:131], v[116:117]
	v_add_f64 v[106:107], v[136:137], v[106:107]
	v_fma_f64 v[130:131], v[49:50], s[12:13], -v[151:152]
	v_mul_f64 v[136:137], v[57:58], s[48:49]
	v_add_f64 v[112:113], v[124:125], v[112:113]
	v_fma_f64 v[124:125], v[65:66], s[36:37], v[163:164]
	v_add_f64 v[122:123], v[122:123], v[27:28]
	v_fma_f64 v[163:164], v[51:52], s[12:13], v[153:154]
	v_mul_f64 v[173:174], v[78:79], s[54:55]
	v_add_f64 v[27:28], v[157:158], v[126:127]
	v_add_f64 v[118:119], v[159:160], v[118:119]
	;; [unrolled: 1-line block ×3, first 2 shown]
	v_mul_f64 v[159:160], v[73:74], s[52:53]
	v_mul_f64 v[161:162], v[69:70], s[52:53]
	v_add_f64 v[110:111], v[142:143], v[110:111]
	v_mul_f64 v[73:74], v[73:74], s[56:57]
	v_fma_f64 v[142:143], v[67:68], s[22:23], v[148:149]
	v_fma_f64 v[148:149], v[67:68], s[22:23], -v[148:149]
	v_mul_f64 v[69:70], v[69:70], s[56:57]
	v_add_f64 v[108:109], v[134:135], v[108:109]
	v_fma_f64 v[134:135], v[65:66], s[22:23], -v[175:176]
	v_add_f64 v[114:115], v[171:172], v[114:115]
	v_add_f64 v[120:121], v[128:129], v[120:121]
	v_fma_f64 v[128:129], v[65:66], s[22:23], v[175:176]
	v_add_f64 v[106:107], v[130:131], v[106:107]
	v_fma_f64 v[130:131], v[61:62], s[8:9], -v[136:137]
	v_add_f64 v[112:113], v[169:170], v[112:113]
	v_add_f64 v[116:117], v[124:125], v[116:117]
	v_fma_f64 v[124:125], v[63:64], s[8:9], v[177:178]
	v_add_f64 v[122:123], v[163:164], v[122:123]
	v_fma_f64 v[171:172], v[82:83], s[8:9], v[173:174]
	v_fma_f64 v[169:170], v[82:83], s[8:9], -v[173:174]
	v_fma_f64 v[138:139], v[31:32], s[28:29], -v[138:139]
	v_mul_f64 v[173:174], v[37:38], s[42:43]
	v_mul_f64 v[175:176], v[39:40], s[42:43]
	v_add_f64 v[98:99], v[140:141], v[98:99]
	v_mul_f64 v[37:38], v[37:38], s[46:47]
	v_fma_f64 v[140:141], v[33:34], s[22:23], -v[73:74]
	v_mul_f64 v[39:40], v[39:40], s[46:47]
	v_fma_f64 v[165:166], v[29:30], s[22:23], v[165:166]
	v_fma_f64 v[144:145], v[35:36], s[22:23], -v[144:145]
	v_add_f64 v[110:111], v[142:143], v[110:111]
	v_mul_f64 v[142:143], v[71:72], s[40:41]
	v_add_f64 v[114:115], v[148:149], v[114:115]
	v_fma_f64 v[148:149], v[31:32], s[20:21], v[161:162]
	v_add_f64 v[120:121], v[128:129], v[120:121]
	v_mul_f64 v[128:129], v[75:76], s[40:41]
	v_add_f64 v[106:107], v[130:131], v[106:107]
	v_fma_f64 v[130:131], v[33:34], s[20:21], -v[159:160]
	v_fma_f64 v[159:160], v[33:34], s[20:21], v[159:160]
	v_fma_f64 v[33:34], v[33:34], s[22:23], v[73:74]
	v_add_f64 v[122:123], v[124:125], v[122:123]
	v_fma_f64 v[124:125], v[31:32], s[20:21], -v[161:162]
	v_fma_f64 v[73:74], v[31:32], s[22:23], v[69:70]
	v_fma_f64 v[31:32], v[31:32], s[22:23], -v[69:70]
	v_add_f64 v[96:97], v[138:139], v[96:97]
	v_mul_f64 v[167:168], v[80:81], s[54:55]
	v_mul_f64 v[157:158], v[80:81], s[30:31]
	;; [unrolled: 1-line block ×3, first 2 shown]
	v_add_f64 v[88:89], v[140:141], v[88:89]
	v_mul_f64 v[140:141], v[80:81], s[52:53]
	v_add_f64 v[108:109], v[134:135], v[108:109]
	ds_write_b128 v150, v[17:20] offset:544
	ds_write_b128 v150, v[21:24] offset:816
	v_fma_f64 v[138:139], v[65:66], s[38:39], -v[142:143]
	v_add_f64 v[94:95], v[148:149], v[94:95]
	v_fma_f64 v[148:149], v[35:36], s[12:13], v[175:176]
	v_fma_f64 v[175:176], v[35:36], s[12:13], -v[175:176]
	v_fma_f64 v[69:70], v[67:68], s[38:39], v[128:129]
	v_add_f64 v[86:87], v[130:131], v[86:87]
	v_fma_f64 v[130:131], v[29:30], s[12:13], -v[173:174]
	v_add_f64 v[92:93], v[159:160], v[92:93]
	v_mul_f64 v[159:160], v[45:46], s[60:61]
	v_add_f64 v[90:91], v[124:125], v[90:91]
	v_mul_f64 v[124:125], v[47:48], s[60:61]
	v_fma_f64 v[173:174], v[29:30], s[12:13], v[173:174]
	v_add_f64 v[73:74], v[73:74], v[100:101]
	v_fma_f64 v[100:101], v[29:30], s[44:45], -v[37:38]
	v_add_f64 v[33:34], v[33:34], v[104:105]
	v_fma_f64 v[104:105], v[35:36], s[44:45], v[39:40]
	v_mul_f64 v[45:46], v[45:46], s[54:55]
	v_mul_f64 v[47:48], v[47:48], s[54:55]
	v_add_f64 v[31:32], v[31:32], v[102:103]
	v_fma_f64 v[29:30], v[29:30], s[44:45], v[37:38]
	v_fma_f64 v[35:36], v[35:36], s[44:45], -v[39:40]
	v_add_f64 v[37:38], v[165:166], v[98:99]
	v_add_f64 v[39:40], v[144:145], v[96:97]
	v_fma_f64 v[96:97], v[41:42], s[44:45], v[155:156]
	v_fma_f64 v[98:99], v[43:44], s[44:45], -v[146:147]
	v_add_f64 v[94:95], v[148:149], v[94:95]
	v_mul_f64 v[146:147], v[53:54], s[26:27]
	v_mul_f64 v[148:149], v[55:56], s[26:27]
	v_add_f64 v[86:87], v[130:131], v[86:87]
	v_mul_f64 v[53:54], v[53:54], s[30:31]
	v_fma_f64 v[130:131], v[41:42], s[36:37], -v[159:160]
	v_add_f64 v[90:91], v[175:176], v[90:91]
	v_fma_f64 v[144:145], v[43:44], s[36:37], v[124:125]
	v_add_f64 v[92:93], v[173:174], v[92:93]
	v_fma_f64 v[155:156], v[41:42], s[36:37], v[159:160]
	v_fma_f64 v[124:125], v[43:44], s[36:37], -v[124:125]
	v_add_f64 v[88:89], v[100:101], v[88:89]
	v_mul_f64 v[55:56], v[55:56], s[30:31]
	v_fma_f64 v[100:101], v[41:42], s[8:9], -v[45:46]
	v_add_f64 v[73:74], v[104:105], v[73:74]
	v_fma_f64 v[104:105], v[43:44], s[8:9], v[47:48]
	v_add_f64 v[29:30], v[29:30], v[33:34]
	v_add_f64 v[31:32], v[35:36], v[31:32]
	v_fma_f64 v[33:34], v[41:42], s[8:9], v[45:46]
	v_fma_f64 v[35:36], v[43:44], s[8:9], -v[47:48]
	v_add_f64 v[37:38], v[96:97], v[37:38]
	v_add_f64 v[39:40], v[98:99], v[39:40]
	v_fma_f64 v[41:42], v[49:50], s[12:13], v[151:152]
	v_fma_f64 v[43:44], v[51:52], s[12:13], -v[153:154]
	v_mul_f64 v[96:97], v[57:58], s[40:41]
	v_mul_f64 v[98:99], v[59:60], s[40:41]
	;; [unrolled: 1-line block ×3, first 2 shown]
	v_add_f64 v[45:46], v[130:131], v[86:87]
	v_fma_f64 v[86:87], v[49:50], s[22:23], -v[146:147]
	v_add_f64 v[47:48], v[144:145], v[94:95]
	v_fma_f64 v[94:95], v[51:52], s[22:23], v[148:149]
	v_add_f64 v[92:93], v[155:156], v[92:93]
	v_add_f64 v[90:91], v[124:125], v[90:91]
	v_fma_f64 v[124:125], v[49:50], s[22:23], v[146:147]
	v_fma_f64 v[130:131], v[51:52], s[22:23], -v[148:149]
	v_add_f64 v[88:89], v[100:101], v[88:89]
	v_fma_f64 v[100:101], v[49:50], s[36:37], -v[53:54]
	v_mul_f64 v[59:60], v[59:60], s[52:53]
	v_add_f64 v[73:74], v[104:105], v[73:74]
	v_fma_f64 v[104:105], v[51:52], s[36:37], v[55:56]
	v_add_f64 v[29:30], v[33:34], v[29:30]
	v_add_f64 v[31:32], v[35:36], v[31:32]
	v_fma_f64 v[33:34], v[49:50], s[36:37], v[53:54]
	v_fma_f64 v[35:36], v[51:52], s[36:37], -v[55:56]
	v_add_f64 v[37:38], v[41:42], v[37:38]
	v_add_f64 v[39:40], v[43:44], v[39:40]
	v_fma_f64 v[41:42], v[61:62], s[8:9], v[136:137]
	v_fma_f64 v[43:44], v[63:64], s[8:9], -v[177:178]
	v_fma_f64 v[49:50], v[61:62], s[38:39], -v[96:97]
	v_fma_f64 v[51:52], v[63:64], s[38:39], v[98:99]
	v_add_f64 v[45:46], v[86:87], v[45:46]
	v_mul_f64 v[53:54], v[71:72], s[54:55]
	v_add_f64 v[47:48], v[94:95], v[47:48]
	v_mul_f64 v[55:56], v[75:76], s[54:55]
	v_fma_f64 v[94:95], v[63:64], s[38:39], -v[98:99]
	v_add_f64 v[86:87], v[124:125], v[92:93]
	v_add_f64 v[90:91], v[130:131], v[90:91]
	v_fma_f64 v[92:93], v[61:62], s[38:39], v[96:97]
	v_add_f64 v[88:89], v[100:101], v[88:89]
	v_fma_f64 v[96:97], v[61:62], s[20:21], -v[57:58]
	v_mul_f64 v[71:72], v[71:72], s[24:25]
	v_mul_f64 v[75:76], v[75:76], s[24:25]
	v_add_f64 v[73:74], v[104:105], v[73:74]
	v_fma_f64 v[98:99], v[63:64], s[20:21], v[59:60]
	v_add_f64 v[29:30], v[33:34], v[29:30]
	v_add_f64 v[31:32], v[35:36], v[31:32]
	v_fma_f64 v[33:34], v[61:62], s[20:21], v[57:58]
	v_fma_f64 v[35:36], v[63:64], s[20:21], -v[59:60]
	v_add_f64 v[37:38], v[41:42], v[37:38]
	v_add_f64 v[39:40], v[43:44], v[39:40]
	v_fma_f64 v[41:42], v[65:66], s[38:39], v[142:143]
	v_fma_f64 v[43:44], v[67:68], s[38:39], -v[128:129]
	v_add_f64 v[45:46], v[49:50], v[45:46]
	v_fma_f64 v[49:50], v[65:66], s[8:9], -v[53:54]
	v_add_f64 v[47:48], v[51:52], v[47:48]
	v_fma_f64 v[51:52], v[67:68], s[8:9], v[55:56]
	v_fma_f64 v[53:54], v[65:66], s[8:9], v[53:54]
	v_fma_f64 v[55:56], v[67:68], s[8:9], -v[55:56]
	v_add_f64 v[63:64], v[94:95], v[90:91]
	v_add_f64 v[61:62], v[92:93], v[86:87]
	v_mul_f64 v[102:103], v[78:79], s[52:53]
	v_add_f64 v[86:87], v[96:97], v[88:89]
	v_fma_f64 v[88:89], v[65:66], s[28:29], -v[71:72]
	v_fma_f64 v[90:91], v[67:68], s[28:29], v[75:76]
	v_mul_f64 v[57:58], v[80:81], s[24:25]
	v_mul_f64 v[59:60], v[78:79], s[24:25]
	v_add_f64 v[73:74], v[98:99], v[73:74]
	v_mul_f64 v[80:81], v[80:81], s[62:63]
	v_add_f64 v[29:30], v[33:34], v[29:30]
	v_add_f64 v[31:32], v[35:36], v[31:32]
	v_fma_f64 v[33:34], v[65:66], s[28:29], v[71:72]
	v_fma_f64 v[35:36], v[67:68], s[28:29], -v[75:76]
	v_add_f64 v[65:66], v[138:139], v[106:107]
	v_add_f64 v[67:68], v[69:70], v[122:123]
	v_fma_f64 v[69:70], v[84:85], s[20:21], -v[140:141]
	v_mul_f64 v[78:79], v[78:79], s[62:63]
	v_add_f64 v[98:99], v[49:50], v[45:46]
	v_fma_f64 v[132:133], v[84:85], s[8:9], -v[167:168]
	v_fma_f64 v[134:135], v[84:85], s[36:37], -v[157:158]
	v_fma_f64 v[161:162], v[82:83], s[36:37], v[163:164]
	v_add_f64 v[100:101], v[51:52], v[47:48]
	v_add_f64 v[61:62], v[53:54], v[61:62]
	v_fma_f64 v[71:72], v[82:83], s[20:21], v[102:103]
	v_fma_f64 v[96:97], v[82:83], s[20:21], -v[102:103]
	v_add_f64 v[63:64], v[55:56], v[63:64]
	v_add_f64 v[86:87], v[88:89], v[86:87]
	v_fma_f64 v[102:103], v[84:85], s[28:29], -v[57:58]
	v_fma_f64 v[104:105], v[82:83], s[28:29], v[59:60]
	v_fma_f64 v[57:58], v[84:85], s[28:29], v[57:58]
	v_fma_f64 v[59:60], v[82:83], s[28:29], -v[59:60]
	v_add_f64 v[73:74], v[90:91], v[73:74]
	v_fma_f64 v[88:89], v[84:85], s[12:13], -v[80:81]
	v_add_f64 v[106:107], v[33:34], v[29:30]
	v_add_f64 v[122:123], v[35:36], v[31:32]
	v_fma_f64 v[80:81], v[84:85], s[12:13], v[80:81]
	v_add_f64 v[75:76], v[41:42], v[37:38]
	v_add_f64 v[45:46], v[69:70], v[65:66]
	v_mul_u32_u24_e32 v65, 0x2493, v0
	v_fma_f64 v[90:91], v[82:83], s[12:13], v[78:79]
	v_fma_f64 v[78:79], v[82:83], s[12:13], -v[78:79]
	v_add_f64 v[92:93], v[43:44], v[39:40]
	v_fma_f64 v[94:95], v[84:85], s[20:21], v[140:141]
	v_lshrrev_b32_e32 v69, 16, v65
	v_fma_f64 v[157:158], v[84:85], s[36:37], v[157:158]
	v_fma_f64 v[163:164], v[82:83], s[36:37], -v[163:164]
	v_fma_f64 v[167:168], v[84:85], s[8:9], v[167:168]
	v_add_f64 v[29:30], v[132:133], v[118:119]
	v_mul_lo_u16 v70, v69, 7
	v_add_f64 v[31:32], v[171:172], v[126:127]
	v_add_f64 v[37:38], v[134:135], v[108:109]
	;; [unrolled: 1-line block ×4, first 2 shown]
	v_sub_nc_u16 v3, v0, v70
	v_add_f64 v[53:54], v[102:103], v[98:99]
	v_add_f64 v[55:56], v[104:105], v[100:101]
	;; [unrolled: 1-line block ×4, first 2 shown]
	v_and_b32_e32 v2, 0xffff, v3
	v_add_f64 v[61:62], v[88:89], v[86:87]
	v_add_f64 v[65:66], v[80:81], v[106:107]
	;; [unrolled: 1-line block ×4, first 2 shown]
	v_mad_u64_u32 v[0:1], null, s0, v2, 0
	v_add_f64 v[49:50], v[94:95], v[75:76]
	v_add_f64 v[51:52], v[96:97], v[92:93]
	;; [unrolled: 1-line block ×6, first 2 shown]
	v_mad_u64_u32 v[1:2], null, s1, v2, v[1:2]
	s_lshl_b64 s[0:1], s[4:5], 4
	v_mul_lo_u32 v76, s2, v69
	v_mul_lo_u16 v2, 0x121, v3
	v_mov_b32_e32 v3, 4
	s_add_u32 s3, s10, s0
	s_addc_u32 s4, s11, s1
	s_lshl_b64 s[0:1], s[14:15], 4
	v_lshlrev_b64 v[0:1], 4, v[0:1]
	s_add_u32 s3, s3, s0
	s_addc_u32 s4, s4, s1
	s_lshl_b64 s[0:1], s[6:7], 4
	v_lshlrev_b32_sdwa v4, v3, v2 dst_sel:DWORD dst_unused:UNUSED_PAD src0_sel:DWORD src1_sel:WORD_0
	v_lshlrev_b32_e32 v5, 4, v69
	s_add_u32 s3, s3, s0
	v_lshlrev_b64 v[2:3], 4, v[76:77]
	ds_write_b128 v150, v[29:32] offset:1088
	s_addc_u32 s1, s4, s1
	s_mul_i32 s0, s2, 17
	v_add_co_u32 v30, vcc_lo, s3, v0
	ds_write_b128 v150, v[37:40] offset:1360
	ds_write_b128 v150, v[45:48] offset:1632
	;; [unrolled: 1-line block ×10, first 2 shown]
	v_add3_u32 v6, 0, v4, v5
	v_add_nc_u32_e32 v76, s0, v76
	v_add_co_ci_u32_e32 v31, vcc_lo, s1, v1, vcc_lo
	v_add3_u32 v26, 0, v5, v4
	v_add_co_u32 v18, vcc_lo, v30, v2
	ds_write_b128 v150, v[13:16] offset:4080
	ds_write_b128 v150, v[9:12] offset:4352
	s_waitcnt lgkmcnt(0)
	s_barrier
	buffer_gl0_inv
	v_lshlrev_b64 v[16:17], 4, v[76:77]
	v_add_nc_u32_e32 v76, s0, v76
	v_add_co_ci_u32_e32 v19, vcc_lo, v31, v3, vcc_lo
	ds_read_b128 v[0:3], v6
	ds_read_b128 v[4:7], v26 offset:272
	ds_read_b128 v[8:11], v26 offset:544
	;; [unrolled: 1-line block ×3, first 2 shown]
	v_lshlrev_b64 v[20:21], 4, v[76:77]
	v_add_nc_u32_e32 v76, s0, v76
	v_add_co_u32 v16, vcc_lo, v30, v16
	v_add_co_ci_u32_e32 v17, vcc_lo, v31, v17, vcc_lo
	v_lshlrev_b64 v[22:23], 4, v[76:77]
	v_add_nc_u32_e32 v76, s0, v76
	v_add_co_u32 v20, vcc_lo, v30, v20
	v_add_co_ci_u32_e32 v21, vcc_lo, v31, v21, vcc_lo
	v_add_co_u32 v22, vcc_lo, v30, v22
	v_lshlrev_b64 v[24:25], 4, v[76:77]
	v_add_nc_u32_e32 v76, s0, v76
	v_add_co_ci_u32_e32 v23, vcc_lo, v31, v23, vcc_lo
	s_waitcnt lgkmcnt(3)
	global_store_dwordx4 v[18:19], v[0:3], off
	s_waitcnt lgkmcnt(2)
	global_store_dwordx4 v[16:17], v[4:7], off
	;; [unrolled: 2-line block ×4, first 2 shown]
	v_lshlrev_b64 v[16:17], 4, v[76:77]
	v_add_nc_u32_e32 v76, s0, v76
	ds_read_b128 v[0:3], v26 offset:1088
	ds_read_b128 v[4:7], v26 offset:1360
	;; [unrolled: 1-line block ×4, first 2 shown]
	v_add_co_u32 v18, vcc_lo, v30, v24
	v_lshlrev_b64 v[20:21], 4, v[76:77]
	v_add_nc_u32_e32 v76, s0, v76
	v_add_co_ci_u32_e32 v19, vcc_lo, v31, v25, vcc_lo
	v_add_co_u32 v16, vcc_lo, v30, v16
	v_lshlrev_b64 v[22:23], 4, v[76:77]
	v_add_nc_u32_e32 v76, s0, v76
	v_add_co_ci_u32_e32 v17, vcc_lo, v31, v17, vcc_lo
	v_add_co_u32 v20, vcc_lo, v30, v20
	v_add_co_ci_u32_e32 v21, vcc_lo, v31, v21, vcc_lo
	v_add_co_u32 v22, vcc_lo, v30, v22
	v_lshlrev_b64 v[24:25], 4, v[76:77]
	v_add_nc_u32_e32 v76, s0, v76
	v_add_co_ci_u32_e32 v23, vcc_lo, v31, v23, vcc_lo
	s_waitcnt lgkmcnt(3)
	global_store_dwordx4 v[18:19], v[0:3], off
	s_waitcnt lgkmcnt(2)
	global_store_dwordx4 v[16:17], v[4:7], off
	s_waitcnt lgkmcnt(1)
	global_store_dwordx4 v[20:21], v[8:11], off
	s_waitcnt lgkmcnt(0)
	global_store_dwordx4 v[22:23], v[12:15], off
	ds_read_b128 v[0:3], v26 offset:2176
	ds_read_b128 v[4:7], v26 offset:2448
	v_lshlrev_b64 v[16:17], 4, v[76:77]
	v_add_nc_u32_e32 v76, s0, v76
	ds_read_b128 v[8:11], v26 offset:2720
	ds_read_b128 v[12:15], v26 offset:2992
	v_add_co_u32 v18, vcc_lo, v30, v24
	v_add_co_ci_u32_e32 v19, vcc_lo, v31, v25, vcc_lo
	v_lshlrev_b64 v[20:21], 4, v[76:77]
	v_add_nc_u32_e32 v76, s0, v76
	v_add_co_u32 v16, vcc_lo, v30, v16
	v_add_co_ci_u32_e32 v17, vcc_lo, v31, v17, vcc_lo
	v_lshlrev_b64 v[22:23], 4, v[76:77]
	v_add_nc_u32_e32 v76, s0, v76
	;; [unrolled: 4-line block ×3, first 2 shown]
	v_add_co_u32 v22, vcc_lo, v30, v22
	v_add_co_ci_u32_e32 v23, vcc_lo, v31, v23, vcc_lo
	s_waitcnt lgkmcnt(3)
	global_store_dwordx4 v[18:19], v[0:3], off
	s_waitcnt lgkmcnt(2)
	global_store_dwordx4 v[16:17], v[4:7], off
	;; [unrolled: 2-line block ×4, first 2 shown]
	v_lshlrev_b64 v[8:9], 4, v[76:77]
	v_add_co_u32 v20, vcc_lo, v30, v24
	v_add_nc_u32_e32 v76, s0, v76
	v_add_co_ci_u32_e32 v21, vcc_lo, v31, v25, vcc_lo
	v_add_co_u32 v24, vcc_lo, v30, v8
	ds_read_b128 v[0:3], v26 offset:3264
	ds_read_b128 v[4:7], v26 offset:3536
	v_add_co_ci_u32_e32 v25, vcc_lo, v31, v9, vcc_lo
	ds_read_b128 v[8:11], v26 offset:3808
	ds_read_b128 v[12:15], v26 offset:4080
	;; [unrolled: 1-line block ×3, first 2 shown]
	v_lshlrev_b64 v[22:23], 4, v[76:77]
	v_add_nc_u32_e32 v76, s0, v76
	v_lshlrev_b64 v[26:27], 4, v[76:77]
	v_add_nc_u32_e32 v76, s0, v76
	v_add_co_u32 v22, vcc_lo, v30, v22
	v_add_co_ci_u32_e32 v23, vcc_lo, v31, v23, vcc_lo
	v_lshlrev_b64 v[28:29], 4, v[76:77]
	v_add_co_u32 v26, vcc_lo, v30, v26
	v_add_co_ci_u32_e32 v27, vcc_lo, v31, v27, vcc_lo
	v_add_co_u32 v28, vcc_lo, v30, v28
	v_add_co_ci_u32_e32 v29, vcc_lo, v31, v29, vcc_lo
	s_waitcnt lgkmcnt(4)
	global_store_dwordx4 v[20:21], v[0:3], off
	s_waitcnt lgkmcnt(3)
	global_store_dwordx4 v[24:25], v[4:7], off
	;; [unrolled: 2-line block ×5, first 2 shown]
	s_endpgm
	.section	.rodata,"a",@progbits
	.p2align	6, 0x0
	.amdhsa_kernel fft_rtc_fwd_len289_factors_17_17_wgs_119_tpt_17_dp_op_CI_CI_sbrc_xy_z_aligned
		.amdhsa_group_segment_fixed_size 0
		.amdhsa_private_segment_fixed_size 0
		.amdhsa_kernarg_size 104
		.amdhsa_user_sgpr_count 6
		.amdhsa_user_sgpr_private_segment_buffer 1
		.amdhsa_user_sgpr_dispatch_ptr 0
		.amdhsa_user_sgpr_queue_ptr 0
		.amdhsa_user_sgpr_kernarg_segment_ptr 1
		.amdhsa_user_sgpr_dispatch_id 0
		.amdhsa_user_sgpr_flat_scratch_init 0
		.amdhsa_user_sgpr_private_segment_size 0
		.amdhsa_wavefront_size32 1
		.amdhsa_uses_dynamic_stack 0
		.amdhsa_system_sgpr_private_segment_wavefront_offset 0
		.amdhsa_system_sgpr_workgroup_id_x 1
		.amdhsa_system_sgpr_workgroup_id_y 0
		.amdhsa_system_sgpr_workgroup_id_z 0
		.amdhsa_system_sgpr_workgroup_info 0
		.amdhsa_system_vgpr_workitem_id 0
		.amdhsa_next_free_vgpr 214
		.amdhsa_next_free_sgpr 68
		.amdhsa_reserve_vcc 1
		.amdhsa_reserve_flat_scratch 0
		.amdhsa_float_round_mode_32 0
		.amdhsa_float_round_mode_16_64 0
		.amdhsa_float_denorm_mode_32 3
		.amdhsa_float_denorm_mode_16_64 3
		.amdhsa_dx10_clamp 1
		.amdhsa_ieee_mode 1
		.amdhsa_fp16_overflow 0
		.amdhsa_workgroup_processor_mode 1
		.amdhsa_memory_ordered 1
		.amdhsa_forward_progress 0
		.amdhsa_shared_vgpr_count 0
		.amdhsa_exception_fp_ieee_invalid_op 0
		.amdhsa_exception_fp_denorm_src 0
		.amdhsa_exception_fp_ieee_div_zero 0
		.amdhsa_exception_fp_ieee_overflow 0
		.amdhsa_exception_fp_ieee_underflow 0
		.amdhsa_exception_fp_ieee_inexact 0
		.amdhsa_exception_int_div_zero 0
	.end_amdhsa_kernel
	.text
.Lfunc_end0:
	.size	fft_rtc_fwd_len289_factors_17_17_wgs_119_tpt_17_dp_op_CI_CI_sbrc_xy_z_aligned, .Lfunc_end0-fft_rtc_fwd_len289_factors_17_17_wgs_119_tpt_17_dp_op_CI_CI_sbrc_xy_z_aligned
                                        ; -- End function
	.section	.AMDGPU.csdata,"",@progbits
; Kernel info:
; codeLenInByte = 16820
; NumSgprs: 70
; NumVgprs: 214
; ScratchSize: 0
; MemoryBound: 0
; FloatMode: 240
; IeeeMode: 1
; LDSByteSize: 0 bytes/workgroup (compile time only)
; SGPRBlocks: 8
; VGPRBlocks: 26
; NumSGPRsForWavesPerEU: 70
; NumVGPRsForWavesPerEU: 214
; Occupancy: 4
; WaveLimiterHint : 1
; COMPUTE_PGM_RSRC2:SCRATCH_EN: 0
; COMPUTE_PGM_RSRC2:USER_SGPR: 6
; COMPUTE_PGM_RSRC2:TRAP_HANDLER: 0
; COMPUTE_PGM_RSRC2:TGID_X_EN: 1
; COMPUTE_PGM_RSRC2:TGID_Y_EN: 0
; COMPUTE_PGM_RSRC2:TGID_Z_EN: 0
; COMPUTE_PGM_RSRC2:TIDIG_COMP_CNT: 0
	.text
	.p2alignl 6, 3214868480
	.fill 48, 4, 3214868480
	.type	__hip_cuid_bee78df620a2e8da,@object ; @__hip_cuid_bee78df620a2e8da
	.section	.bss,"aw",@nobits
	.globl	__hip_cuid_bee78df620a2e8da
__hip_cuid_bee78df620a2e8da:
	.byte	0                               ; 0x0
	.size	__hip_cuid_bee78df620a2e8da, 1

	.ident	"AMD clang version 19.0.0git (https://github.com/RadeonOpenCompute/llvm-project roc-6.4.0 25133 c7fe45cf4b819c5991fe208aaa96edf142730f1d)"
	.section	".note.GNU-stack","",@progbits
	.addrsig
	.addrsig_sym __hip_cuid_bee78df620a2e8da
	.amdgpu_metadata
---
amdhsa.kernels:
  - .args:
      - .actual_access:  read_only
        .address_space:  global
        .offset:         0
        .size:           8
        .value_kind:     global_buffer
      - .offset:         8
        .size:           8
        .value_kind:     by_value
      - .actual_access:  read_only
        .address_space:  global
        .offset:         16
        .size:           8
        .value_kind:     global_buffer
      - .actual_access:  read_only
        .address_space:  global
        .offset:         24
        .size:           8
        .value_kind:     global_buffer
      - .actual_access:  read_only
        .address_space:  global
        .offset:         32
        .size:           8
        .value_kind:     global_buffer
      - .offset:         40
        .size:           8
        .value_kind:     by_value
      - .actual_access:  read_only
        .address_space:  global
        .offset:         48
        .size:           8
        .value_kind:     global_buffer
      - .actual_access:  read_only
        .address_space:  global
        .offset:         56
        .size:           8
        .value_kind:     global_buffer
      - .offset:         64
        .size:           4
        .value_kind:     by_value
      - .actual_access:  read_only
        .address_space:  global
        .offset:         72
        .size:           8
        .value_kind:     global_buffer
      - .actual_access:  read_only
        .address_space:  global
        .offset:         80
        .size:           8
        .value_kind:     global_buffer
      - .actual_access:  read_only
        .address_space:  global
        .offset:         88
        .size:           8
        .value_kind:     global_buffer
      - .actual_access:  write_only
        .address_space:  global
        .offset:         96
        .size:           8
        .value_kind:     global_buffer
    .group_segment_fixed_size: 0
    .kernarg_segment_align: 8
    .kernarg_segment_size: 104
    .language:       OpenCL C
    .language_version:
      - 2
      - 0
    .max_flat_workgroup_size: 119
    .name:           fft_rtc_fwd_len289_factors_17_17_wgs_119_tpt_17_dp_op_CI_CI_sbrc_xy_z_aligned
    .private_segment_fixed_size: 0
    .sgpr_count:     70
    .sgpr_spill_count: 0
    .symbol:         fft_rtc_fwd_len289_factors_17_17_wgs_119_tpt_17_dp_op_CI_CI_sbrc_xy_z_aligned.kd
    .uniform_work_group_size: 1
    .uses_dynamic_stack: false
    .vgpr_count:     214
    .vgpr_spill_count: 0
    .wavefront_size: 32
    .workgroup_processor_mode: 1
amdhsa.target:   amdgcn-amd-amdhsa--gfx1030
amdhsa.version:
  - 1
  - 2
...

	.end_amdgpu_metadata
